;; amdgpu-corpus repo=ROCm/rocFFT kind=compiled arch=gfx906 opt=O3
	.text
	.amdgcn_target "amdgcn-amd-amdhsa--gfx906"
	.amdhsa_code_object_version 6
	.protected	bluestein_single_fwd_len693_dim1_sp_op_CI_CI ; -- Begin function bluestein_single_fwd_len693_dim1_sp_op_CI_CI
	.globl	bluestein_single_fwd_len693_dim1_sp_op_CI_CI
	.p2align	8
	.type	bluestein_single_fwd_len693_dim1_sp_op_CI_CI,@function
bluestein_single_fwd_len693_dim1_sp_op_CI_CI: ; @bluestein_single_fwd_len693_dim1_sp_op_CI_CI
; %bb.0:
	s_load_dwordx4 s[0:3], s[4:5], 0x28
	v_mul_u32_u24_e32 v1, 0x296, v0
	v_add_u32_sdwa v50, s6, v1 dst_sel:DWORD dst_unused:UNUSED_PAD src0_sel:DWORD src1_sel:WORD_1
	v_mov_b32_e32 v51, 0
	s_waitcnt lgkmcnt(0)
	v_cmp_gt_u64_e32 vcc, s[0:1], v[50:51]
	s_and_saveexec_b64 s[0:1], vcc
	s_cbranch_execz .LBB0_23
; %bb.1:
	s_load_dwordx2 s[10:11], s[4:5], 0x0
	s_load_dwordx2 s[8:9], s[4:5], 0x38
	s_movk_i32 s0, 0x63
	v_mul_lo_u16_sdwa v1, v1, s0 dst_sel:DWORD dst_unused:UNUSED_PAD src0_sel:WORD_1 src1_sel:DWORD
	v_sub_u16_e32 v56, v0, v1
	v_cmp_gt_u16_e64 s[0:1], 63, v56
	v_lshlrev_b32_e32 v55, 3, v56
	s_and_saveexec_b64 s[6:7], s[0:1]
	s_cbranch_execz .LBB0_3
; %bb.2:
	s_load_dwordx2 s[12:13], s[4:5], 0x18
	s_waitcnt lgkmcnt(0)
	v_mov_b32_e32 v28, s11
	s_load_dwordx4 s[12:15], s[12:13], 0x0
	s_waitcnt lgkmcnt(0)
	v_mad_u64_u32 v[0:1], s[16:17], s14, v50, 0
	v_mad_u64_u32 v[2:3], s[16:17], s12, v56, 0
	;; [unrolled: 1-line block ×4, first 2 shown]
	v_mov_b32_e32 v1, v4
	v_lshlrev_b64 v[0:1], 3, v[0:1]
	v_mov_b32_e32 v3, v5
	v_mov_b32_e32 v6, s3
	v_lshlrev_b64 v[2:3], 3, v[2:3]
	v_add_co_u32_e32 v0, vcc, s2, v0
	v_addc_co_u32_e32 v1, vcc, v6, v1, vcc
	v_add_co_u32_e32 v0, vcc, v0, v2
	s_mul_i32 s2, s13, 0x1f8
	s_mul_hi_u32 s3, s12, 0x1f8
	v_addc_co_u32_e32 v1, vcc, v1, v3, vcc
	s_add_i32 s3, s3, s2
	s_mul_i32 s2, s12, 0x1f8
	v_mov_b32_e32 v3, s3
	v_add_co_u32_e32 v2, vcc, s2, v0
	v_addc_co_u32_e32 v3, vcc, v1, v3, vcc
	v_mov_b32_e32 v13, s3
	v_add_co_u32_e32 v12, vcc, s2, v2
	v_addc_co_u32_e32 v13, vcc, v3, v13, vcc
	;; [unrolled: 3-line block ×3, first 2 shown]
	v_add_co_u32_e32 v40, vcc, s10, v55
	v_addc_co_u32_e32 v41, vcc, 0, v28, vcc
	global_load_dwordx2 v[4:5], v55, s[10:11]
	global_load_dwordx2 v[6:7], v55, s[10:11] offset:504
	global_load_dwordx2 v[8:9], v55, s[10:11] offset:1008
	;; [unrolled: 1-line block ×3, first 2 shown]
	global_load_dwordx2 v[16:17], v[0:1], off
	global_load_dwordx2 v[18:19], v[2:3], off
	;; [unrolled: 1-line block ×4, first 2 shown]
	v_mov_b32_e32 v28, s3
	v_add_co_u32_e32 v14, vcc, s2, v14
	v_addc_co_u32_e32 v15, vcc, v15, v28, vcc
	v_mov_b32_e32 v29, s3
	v_add_co_u32_e32 v28, vcc, s2, v14
	v_addc_co_u32_e32 v29, vcc, v15, v29, vcc
	;; [unrolled: 3-line block ×3, first 2 shown]
	global_load_dwordx2 v[0:1], v55, s[10:11] offset:2016
	global_load_dwordx2 v[2:3], v55, s[10:11] offset:2520
	;; [unrolled: 1-line block ×5, first 2 shown]
	v_mov_b32_e32 v38, s3
	global_load_dwordx2 v[32:33], v[14:15], off
	global_load_dwordx2 v[34:35], v[28:29], off
	global_load_dwordx2 v[36:37], v[30:31], off
	v_add_co_u32_e32 v14, vcc, s2, v30
	v_addc_co_u32_e32 v15, vcc, v31, v38, vcc
	v_mov_b32_e32 v39, s3
	v_add_co_u32_e32 v28, vcc, s2, v14
	v_addc_co_u32_e32 v29, vcc, v15, v39, vcc
	global_load_dwordx2 v[30:31], v[14:15], off
	global_load_dwordx2 v[38:39], v[28:29], off
	v_mov_b32_e32 v15, s3
	v_add_co_u32_e32 v14, vcc, s2, v28
	v_addc_co_u32_e32 v15, vcc, v29, v15, vcc
	v_mov_b32_e32 v44, s3
	s_movk_i32 s3, 0x1000
	v_add_co_u32_e32 v40, vcc, s3, v40
	v_addc_co_u32_e32 v41, vcc, 0, v41, vcc
	global_load_dwordx2 v[28:29], v[14:15], off
	global_load_dwordx2 v[42:43], v[40:41], off offset:440
	v_add_co_u32_e32 v14, vcc, s2, v14
	v_addc_co_u32_e32 v15, vcc, v15, v44, vcc
	global_load_dwordx2 v[44:45], v[14:15], off
	global_load_dwordx2 v[46:47], v[40:41], off offset:944
	s_waitcnt vmcnt(17)
	v_mul_f32_e32 v14, v16, v5
	v_fma_f32 v15, v17, v4, -v14
	v_mul_f32_e32 v14, v17, v5
	v_fmac_f32_e32 v14, v16, v4
	s_waitcnt vmcnt(16)
	v_mul_f32_e32 v4, v18, v7
	v_fma_f32 v5, v19, v6, -v4
	v_mul_f32_e32 v4, v19, v7
	v_fmac_f32_e32 v4, v18, v6
	ds_write2_b64 v55, v[14:15], v[4:5] offset1:63
	s_waitcnt vmcnt(15)
	v_mul_f32_e32 v4, v20, v9
	s_waitcnt vmcnt(14)
	v_mul_f32_e32 v6, v22, v11
	v_fma_f32 v5, v21, v8, -v4
	v_mul_f32_e32 v4, v21, v9
	v_fma_f32 v7, v23, v10, -v6
	v_mul_f32_e32 v6, v23, v11
	v_fmac_f32_e32 v4, v20, v8
	v_fmac_f32_e32 v6, v22, v10
	ds_write2_b64 v55, v[4:5], v[6:7] offset0:126 offset1:189
	s_waitcnt vmcnt(8)
	v_mul_f32_e32 v4, v33, v1
	v_mul_f32_e32 v1, v32, v1
	v_fmac_f32_e32 v4, v32, v0
	v_fma_f32 v5, v33, v0, -v1
	s_waitcnt vmcnt(7)
	v_mul_f32_e32 v0, v35, v3
	v_mul_f32_e32 v1, v34, v3
	v_fmac_f32_e32 v0, v34, v2
	v_fma_f32 v1, v35, v2, -v1
	v_add_u32_e32 v2, 0x400, v55
	ds_write2_b64 v2, v[4:5], v[0:1] offset0:124 offset1:187
	s_waitcnt vmcnt(6)
	v_mul_f32_e32 v0, v37, v13
	v_mul_f32_e32 v1, v36, v13
	s_waitcnt vmcnt(5)
	v_mul_f32_e32 v2, v31, v25
	v_mul_f32_e32 v3, v30, v25
	v_fmac_f32_e32 v0, v36, v12
	v_fma_f32 v1, v37, v12, -v1
	v_fmac_f32_e32 v2, v30, v24
	v_fma_f32 v3, v31, v24, -v3
	v_add_u32_e32 v4, 0x800, v55
	ds_write2_b64 v4, v[0:1], v[2:3] offset0:122 offset1:185
	s_waitcnt vmcnt(4)
	v_mul_f32_e32 v0, v39, v27
	v_mul_f32_e32 v1, v38, v27
	v_fmac_f32_e32 v0, v38, v26
	v_fma_f32 v1, v39, v26, -v1
	v_add_u32_e32 v4, 0xc00, v55
	s_waitcnt vmcnt(2)
	v_mul_f32_e32 v2, v29, v43
	v_mul_f32_e32 v3, v28, v43
	v_fmac_f32_e32 v2, v28, v42
	v_fma_f32 v3, v29, v42, -v3
	ds_write2_b64 v4, v[0:1], v[2:3] offset0:120 offset1:183
	s_waitcnt vmcnt(0)
	v_mul_f32_e32 v0, v45, v47
	v_mul_f32_e32 v1, v44, v47
	v_fmac_f32_e32 v0, v44, v46
	v_fma_f32 v1, v45, v46, -v1
	ds_write_b64 v55, v[0:1] offset:5040
.LBB0_3:
	s_or_b64 exec, exec, s[6:7]
	s_load_dwordx2 s[2:3], s[4:5], 0x20
	s_load_dwordx2 s[12:13], s[4:5], 0x8
	v_mov_b32_e32 v4, 0
	v_mov_b32_e32 v5, 0
	s_waitcnt lgkmcnt(0)
	s_barrier
	s_waitcnt lgkmcnt(0)
                                        ; implicit-def: $vgpr8
                                        ; implicit-def: $vgpr20
                                        ; implicit-def: $vgpr24
                                        ; implicit-def: $vgpr18
                                        ; implicit-def: $vgpr14
	s_and_saveexec_b64 s[4:5], s[0:1]
	s_cbranch_execz .LBB0_5
; %bb.4:
	v_add_u32_e32 v0, 0x400, v55
	ds_read2_b64 v[4:7], v55 offset1:63
	ds_read2_b64 v[12:15], v55 offset0:126 offset1:189
	ds_read2_b64 v[16:19], v0 offset0:124 offset1:187
	v_add_u32_e32 v0, 0x800, v55
	ds_read2_b64 v[8:11], v0 offset0:122 offset1:185
	v_add_u32_e32 v0, 0xc00, v55
	ds_read2_b64 v[20:23], v0 offset0:120 offset1:183
	ds_read_b64 v[24:25], v55 offset:5040
.LBB0_5:
	s_or_b64 exec, exec, s[4:5]
	s_waitcnt lgkmcnt(0)
	v_sub_f32_e32 v44, v7, v25
	v_mul_f32_e32 v29, 0xbf0a6770, v44
	v_sub_f32_e32 v48, v13, v23
	v_add_f32_e32 v26, v24, v6
	v_sub_f32_e32 v47, v6, v24
	v_mov_b32_e32 v0, v29
	v_mul_f32_e32 v33, 0xbf68dda4, v48
	v_add_f32_e32 v27, v25, v7
	s_mov_b32 s6, 0x3f575c64
	v_mul_f32_e32 v31, 0xbf0a6770, v47
	v_fmac_f32_e32 v0, 0x3f575c64, v26
	v_add_f32_e32 v28, v22, v12
	v_mov_b32_e32 v2, v33
	v_sub_f32_e32 v54, v12, v22
	v_add_f32_e32 v0, v0, v4
	v_fma_f32 v1, v27, s6, -v31
	s_mov_b32 s7, 0x3ed4b147
	v_add_f32_e32 v30, v23, v13
	v_fmac_f32_e32 v2, 0x3ed4b147, v28
	v_mul_f32_e32 v37, 0xbf68dda4, v54
	v_sub_f32_e32 v58, v15, v21
	v_add_f32_e32 v1, v1, v5
	v_add_f32_e32 v0, v2, v0
	v_fma_f32 v2, v30, s7, -v37
	v_mul_f32_e32 v39, 0xbf7d64f0, v58
	v_add_f32_e32 v1, v2, v1
	v_add_f32_e32 v32, v20, v14
	v_mov_b32_e32 v2, v39
	v_sub_f32_e32 v65, v14, v20
	v_fmac_f32_e32 v2, 0xbe11bafb, v32
	s_mov_b32 s14, 0xbe11bafb
	v_add_f32_e32 v36, v21, v15
	v_mul_f32_e32 v41, 0xbf7d64f0, v65
	v_sub_f32_e32 v68, v17, v11
	v_add_f32_e32 v0, v2, v0
	v_fma_f32 v2, v36, s14, -v41
	v_mul_f32_e32 v43, 0xbf4178ce, v68
	v_add_f32_e32 v1, v2, v1
	v_add_f32_e32 v38, v10, v16
	v_mov_b32_e32 v2, v43
	v_sub_f32_e32 v71, v16, v10
	v_fmac_f32_e32 v2, 0xbf27a4f4, v38
	s_mov_b32 s15, 0xbf27a4f4
	v_add_f32_e32 v40, v11, v17
	v_mul_f32_e32 v46, 0xbf4178ce, v71
	v_sub_f32_e32 v74, v19, v9
	v_add_f32_e32 v0, v2, v0
	v_fma_f32 v2, v40, s15, -v46
	v_mul_f32_e32 v49, 0xbe903f40, v74
	v_add_f32_e32 v1, v2, v1
	v_add_f32_e32 v42, v8, v18
	v_mov_b32_e32 v2, v49
	v_sub_f32_e32 v81, v18, v8
	s_mov_b32 s16, 0xbf75a155
	v_fmac_f32_e32 v2, 0xbf75a155, v42
	v_add_f32_e32 v45, v9, v19
	v_mul_f32_e32 v53, 0xbe903f40, v81
	v_add_f32_e32 v51, v2, v0
	v_fma_f32 v0, v45, s16, -v53
	v_mul_f32_e32 v59, 0xbf68dda4, v44
	v_add_f32_e32 v52, v0, v1
	v_mov_b32_e32 v0, v59
	v_mul_f32_e32 v60, 0xbf4178ce, v48
	v_fmac_f32_e32 v0, 0x3ed4b147, v26
	v_mov_b32_e32 v1, v60
	v_add_f32_e32 v0, v0, v4
	v_fmac_f32_e32 v1, 0xbf27a4f4, v28
	v_mul_f32_e32 v63, 0xbf68dda4, v47
	v_add_f32_e32 v0, v1, v0
	v_fma_f32 v1, v27, s7, -v63
	v_mul_f32_e32 v64, 0xbf4178ce, v54
	v_add_f32_e32 v1, v1, v5
	v_fma_f32 v2, v30, s15, -v64
	v_mul_f32_e32 v61, 0x3e903f40, v58
	v_add_f32_e32 v1, v2, v1
	v_mov_b32_e32 v2, v61
	v_fmac_f32_e32 v2, 0xbf75a155, v32
	v_mul_f32_e32 v67, 0x3e903f40, v65
	v_add_f32_e32 v0, v2, v0
	v_fma_f32 v2, v36, s16, -v67
	v_mul_f32_e32 v62, 0x3f7d64f0, v68
	v_add_f32_e32 v1, v2, v1
	v_mov_b32_e32 v2, v62
	v_fmac_f32_e32 v2, 0xbe11bafb, v38
	;; [unrolled: 7-line block ×3, first 2 shown]
	v_mul_f32_e32 v70, 0x3f0a6770, v81
	v_mul_f32_e32 v72, 0xbf7d64f0, v44
	v_fma_f32 v3, v45, s6, -v70
	v_add_f32_e32 v2, v2, v0
	v_mov_b32_e32 v0, v72
	v_mul_f32_e32 v73, 0x3e903f40, v48
	v_add_f32_e32 v3, v3, v1
	v_fmac_f32_e32 v0, 0xbe11bafb, v26
	v_mov_b32_e32 v1, v73
	v_add_f32_e32 v0, v0, v4
	v_fmac_f32_e32 v1, 0xbf75a155, v28
	v_mul_f32_e32 v77, 0xbf7d64f0, v47
	v_add_f32_e32 v0, v1, v0
	v_fma_f32 v1, v27, s14, -v77
	v_mul_f32_e32 v78, 0x3e903f40, v54
	v_add_f32_e32 v1, v1, v5
	v_fma_f32 v34, v30, s16, -v78
	v_mul_f32_e32 v75, 0x3f68dda4, v58
	v_add_f32_e32 v1, v34, v1
	v_mov_b32_e32 v34, v75
	v_fmac_f32_e32 v34, 0x3ed4b147, v32
	v_mul_f32_e32 v80, 0x3f68dda4, v65
	v_add_f32_e32 v0, v34, v0
	v_fma_f32 v34, v36, s7, -v80
	v_mul_f32_e32 v76, 0xbf0a6770, v68
	v_add_f32_e32 v1, v34, v1
	v_mov_b32_e32 v34, v76
	v_fmac_f32_e32 v34, 0x3f575c64, v38
	;; [unrolled: 7-line block ×3, first 2 shown]
	v_mul_f32_e32 v83, 0xbf4178ce, v81
	v_add_f32_e32 v0, v34, v0
	v_fma_f32 v34, v45, s15, -v83
	v_mul_f32_e32 v84, 0xbf4178ce, v44
	v_add_f32_e32 v1, v34, v1
	v_mov_b32_e32 v34, v84
	v_mul_f32_e32 v85, 0x3f7d64f0, v48
	v_fmac_f32_e32 v34, 0xbf27a4f4, v26
	v_mov_b32_e32 v35, v85
	v_add_f32_e32 v34, v34, v4
	v_fmac_f32_e32 v35, 0xbe11bafb, v28
	v_mul_f32_e32 v89, 0xbf4178ce, v47
	v_add_f32_e32 v34, v35, v34
	v_fma_f32 v35, v27, s15, -v89
	v_mul_f32_e32 v90, 0x3f7d64f0, v54
	v_add_f32_e32 v35, v35, v5
	v_fma_f32 v57, v30, s14, -v90
	v_mul_f32_e32 v86, 0xbf0a6770, v58
	v_add_f32_e32 v35, v57, v35
	v_mov_b32_e32 v57, v86
	v_fmac_f32_e32 v57, 0x3f575c64, v32
	v_mul_f32_e32 v91, 0xbf0a6770, v65
	v_add_f32_e32 v34, v57, v34
	v_fma_f32 v57, v36, s6, -v91
	v_mul_f32_e32 v87, 0xbe903f40, v68
	v_add_f32_e32 v35, v57, v35
	v_mov_b32_e32 v57, v87
	v_fmac_f32_e32 v57, 0xbf75a155, v38
	v_mul_f32_e32 v92, 0xbe903f40, v71
	v_add_f32_e32 v34, v57, v34
	v_fma_f32 v57, v40, s16, -v92
	v_mul_f32_e32 v88, 0x3f68dda4, v74
	v_add_f32_e32 v35, v57, v35
	v_mov_b32_e32 v57, v88
	v_mul_f32_e32 v93, 0x3f68dda4, v81
	v_fmac_f32_e32 v57, 0x3ed4b147, v42
	v_fma_f32 v94, v45, s7, -v93
	v_add_f32_e32 v34, v57, v34
	v_add_f32_e32 v35, v94, v35
	v_mul_lo_u16_e32 v57, 11, v56
	s_barrier
	s_and_saveexec_b64 s[4:5], s[0:1]
	s_cbranch_execz .LBB0_7
; %bb.6:
	v_mul_f32_e32 v121, 0xbe903f40, v47
	v_mov_b32_e32 v47, v121
	v_mul_f32_e32 v54, 0x3f0a6770, v54
	v_fmac_f32_e32 v47, 0xbf75a155, v27
	v_mov_b32_e32 v94, v54
	v_add_f32_e32 v47, v47, v5
	v_fmac_f32_e32 v94, 0x3f575c64, v30
	v_mul_f32_e32 v65, 0xbf4178ce, v65
	v_add_f32_e32 v47, v94, v47
	v_mov_b32_e32 v94, v65
	v_fmac_f32_e32 v94, 0xbf27a4f4, v36
	v_mul_f32_e32 v71, 0x3f68dda4, v71
	v_add_f32_e32 v47, v94, v47
	v_mov_b32_e32 v94, v71
	;; [unrolled: 4-line block ×3, first 2 shown]
	v_mul_f32_e32 v122, 0xbe903f40, v44
	v_fmac_f32_e32 v94, 0xbe11bafb, v45
	v_fma_f32 v44, v26, s16, -v122
	v_mul_f32_e32 v123, 0x3f0a6770, v48
	v_add_f32_e32 v95, v94, v47
	v_add_f32_e32 v44, v44, v4
	v_fma_f32 v47, v28, s6, -v123
	v_mul_f32_e32 v58, 0xbf4178ce, v58
	v_add_f32_e32 v44, v47, v44
	v_fma_f32 v47, v32, s15, -v58
	v_mul_f32_e32 v68, 0x3f68dda4, v68
	;; [unrolled: 3-line block ×3, first 2 shown]
	v_mul_f32_e32 v103, 0xbf27a4f4, v27
	v_add_f32_e32 v44, v47, v44
	v_fma_f32 v47, v42, s14, -v124
	v_mul_f32_e32 v111, 0xbe11bafb, v30
	v_add_f32_e32 v94, v47, v44
	v_add_f32_e32 v47, v89, v103
	v_mul_f32_e32 v119, 0x3f575c64, v36
	v_add_f32_e32 v48, v90, v111
	v_add_f32_e32 v47, v47, v5
	v_mul_f32_e32 v97, 0x3f575c64, v27
	v_add_f32_e32 v47, v48, v47
	v_add_f32_e32 v48, v91, v119
	v_add_f32_e32 v6, v6, v4
	v_mul_f32_e32 v105, 0x3ed4b147, v30
	v_add_f32_e32 v47, v48, v47
	v_mul_f32_e32 v48, 0xbf75a155, v40
	v_add_f32_e32 v31, v31, v97
	v_add_f32_e32 v7, v7, v5
	;; [unrolled: 1-line block ×3, first 2 shown]
	v_mul_f32_e32 v113, 0xbe11bafb, v36
	v_add_f32_e32 v48, v92, v48
	v_add_f32_e32 v31, v31, v5
	v_add_f32_e32 v37, v37, v105
	v_add_f32_e32 v7, v13, v7
	v_add_f32_e32 v6, v14, v6
	v_mul_f32_e32 v44, 0xbf27a4f4, v40
	v_add_f32_e32 v47, v48, v47
	v_mul_f32_e32 v48, 0x3ed4b147, v45
	v_add_f32_e32 v31, v37, v31
	v_add_f32_e32 v37, v41, v113
	;; [unrolled: 1-line block ×4, first 2 shown]
	v_mul_f32_e32 v96, 0x3f575c64, v26
	v_mul_f32_e32 v99, 0x3ed4b147, v27
	;; [unrolled: 1-line block ×3, first 2 shown]
	v_add_f32_e32 v48, v93, v48
	v_mul_f32_e32 v93, 0xbf75a155, v45
	v_add_f32_e32 v31, v37, v31
	v_add_f32_e32 v37, v46, v44
	;; [unrolled: 1-line block ×4, first 2 shown]
	v_mul_f32_e32 v98, 0x3ed4b147, v26
	v_mul_f32_e32 v100, 0xbe11bafb, v26
	;; [unrolled: 1-line block ×4, first 2 shown]
	v_add_f32_e32 v77, v77, v101
	v_add_f32_e32 v63, v63, v99
	v_add_f32_e32 v31, v37, v31
	v_add_f32_e32 v37, v53, v93
	v_sub_f32_e32 v29, v96, v29
	v_add_f32_e32 v7, v19, v7
	v_add_f32_e32 v6, v8, v6
	v_fma_f32 v8, v27, s16, -v121
	v_mul_f32_e32 v106, 0xbf27a4f4, v28
	v_mul_f32_e32 v107, 0xbf27a4f4, v30
	v_mul_f32_e32 v108, 0xbf75a155, v28
	v_mul_f32_e32 v109, 0xbf75a155, v30
	v_mul_f32_e32 v110, 0xbe11bafb, v28
	v_mul_f32_e32 v112, 0xbe11bafb, v32
	v_sub_f32_e32 v84, v102, v84
	v_add_f32_e32 v77, v77, v5
	v_sub_f32_e32 v72, v100, v72
	v_add_f32_e32 v63, v63, v5
	;; [unrolled: 2-line block ×3, first 2 shown]
	v_add_f32_e32 v29, v29, v4
	v_sub_f32_e32 v31, v104, v33
	v_add_f32_e32 v7, v9, v7
	v_add_f32_e32 v5, v8, v5
	v_fma_f32 v8, v30, s6, -v54
	v_fmac_f32_e32 v122, 0xbf75a155, v26
	v_mul_f32_e32 v114, 0xbf75a155, v32
	v_mul_f32_e32 v115, 0xbf75a155, v36
	;; [unrolled: 1-line block ×6, first 2 shown]
	v_sub_f32_e32 v85, v110, v85
	v_add_f32_e32 v84, v84, v4
	v_add_f32_e32 v78, v78, v109
	;; [unrolled: 1-line block ×3, first 2 shown]
	v_sub_f32_e32 v73, v108, v73
	v_add_f32_e32 v64, v64, v107
	v_add_f32_e32 v59, v59, v4
	v_sub_f32_e32 v60, v106, v60
	v_add_f32_e32 v29, v31, v29
	v_sub_f32_e32 v31, v112, v39
	v_add_f32_e32 v7, v11, v7
	v_add_f32_e32 v6, v10, v6
	;; [unrolled: 1-line block ×3, first 2 shown]
	v_fma_f32 v8, v36, s15, -v65
	v_add_f32_e32 v4, v122, v4
	v_fmac_f32_e32 v123, 0x3f575c64, v28
	v_mul_f32_e32 v125, 0xbe11bafb, v38
	v_mul_f32_e32 v89, 0xbe11bafb, v40
	;; [unrolled: 1-line block ×6, first 2 shown]
	v_add_f32_e32 v84, v85, v84
	v_sub_f32_e32 v86, v118, v86
	v_add_f32_e32 v77, v78, v77
	v_add_f32_e32 v78, v80, v117
	v_add_f32_e32 v72, v73, v72
	v_sub_f32_e32 v73, v116, v75
	v_add_f32_e32 v63, v64, v63
	v_add_f32_e32 v64, v67, v115
	;; [unrolled: 1-line block ×3, first 2 shown]
	v_sub_f32_e32 v60, v114, v61
	v_add_f32_e32 v29, v31, v29
	v_sub_f32_e32 v31, v120, v43
	v_add_f32_e32 v7, v21, v7
	v_add_f32_e32 v6, v20, v6
	;; [unrolled: 1-line block ×3, first 2 shown]
	v_fma_f32 v8, v40, s7, -v71
	v_add_f32_e32 v4, v123, v4
	v_fmac_f32_e32 v58, 0xbf27a4f4, v32
	v_mul_f32_e32 v102, 0x3f575c64, v42
	v_mul_f32_e32 v103, 0x3f575c64, v45
	;; [unrolled: 1-line block ×4, first 2 shown]
	v_add_f32_e32 v84, v86, v84
	v_mul_f32_e32 v86, 0x3ed4b147, v42
	v_add_f32_e32 v48, v48, v47
	v_sub_f32_e32 v47, v91, v87
	v_add_f32_e32 v77, v78, v77
	v_add_f32_e32 v74, v82, v74
	;; [unrolled: 1-line block ×3, first 2 shown]
	v_sub_f32_e32 v73, v90, v76
	v_add_f32_e32 v63, v64, v63
	v_add_f32_e32 v64, v69, v89
	;; [unrolled: 1-line block ×3, first 2 shown]
	v_sub_f32_e32 v60, v125, v62
	v_add_f32_e32 v29, v31, v29
	v_sub_f32_e32 v31, v92, v49
	v_add_f32_e32 v7, v23, v7
	v_add_f32_e32 v6, v22, v6
	;; [unrolled: 1-line block ×3, first 2 shown]
	v_fma_f32 v8, v45, s14, -v81
	v_add_f32_e32 v4, v58, v4
	v_fmac_f32_e32 v68, 0x3ed4b147, v38
	v_add_f32_e32 v47, v47, v84
	v_sub_f32_e32 v84, v86, v88
	v_add_f32_e32 v74, v74, v77
	v_add_f32_e32 v77, v83, v110
	v_add_f32_e32 v72, v73, v72
	v_sub_f32_e32 v73, v85, v79
	v_add_f32_e32 v63, v64, v63
	v_add_f32_e32 v64, v70, v103
	;; [unrolled: 4-line block ×3, first 2 shown]
	v_add_f32_e32 v6, v24, v6
	v_add_f32_e32 v5, v8, v5
	;; [unrolled: 1-line block ×3, first 2 shown]
	v_fmac_f32_e32 v124, 0xbe11bafb, v42
	v_lshlrev_b32_e32 v8, 3, v57
	v_add_f32_e32 v47, v84, v47
	v_add_f32_e32 v74, v77, v74
	;; [unrolled: 1-line block ×6, first 2 shown]
	ds_write2_b64 v8, v[6:7], v[43:44] offset1:1
	ds_write2_b64 v8, v[62:63], v[73:74] offset0:2 offset1:3
	ds_write2_b64 v8, v[47:48], v[94:95] offset0:4 offset1:5
	;; [unrolled: 1-line block ×4, first 2 shown]
	ds_write_b64 v8, v[51:52] offset:80
.LBB0_7:
	s_or_b64 exec, exec, s[4:5]
	s_load_dwordx4 s[4:7], s[2:3], 0x0
	s_movk_i32 s2, 0x75
	v_mul_lo_u16_sdwa v4, v56, s2 dst_sel:DWORD dst_unused:UNUSED_PAD src0_sel:BYTE_0 src1_sel:DWORD
	v_sub_u16_sdwa v5, v56, v4 dst_sel:DWORD dst_unused:UNUSED_PAD src0_sel:DWORD src1_sel:BYTE_1
	v_lshrrev_b16_e32 v5, 1, v5
	v_and_b32_e32 v5, 0x7f, v5
	v_add_u16_sdwa v4, v5, v4 dst_sel:DWORD dst_unused:UNUSED_PAD src0_sel:DWORD src1_sel:BYTE_1
	v_lshrrev_b16_e32 v31, 3, v4
	v_mul_lo_u16_e32 v4, 11, v31
	v_sub_u16_e32 v4, v56, v4
	v_and_b32_e32 v48, 0xff, v4
	v_mul_u32_u24_e32 v4, 6, v48
	v_lshlrev_b32_e32 v16, 3, v4
	s_waitcnt lgkmcnt(0)
	s_barrier
	global_load_dwordx4 v[12:15], v16, s[12:13]
	global_load_dwordx4 v[8:11], v16, s[12:13] offset:16
	global_load_dwordx4 v[4:7], v16, s[12:13] offset:32
	v_add_u32_e32 v21, 0x400, v55
	v_add_u32_e32 v16, 0x800, v55
	ds_read2_b64 v[17:20], v55 offset1:99
	ds_read_b64 v[29:30], v55 offset:4752
	ds_read2_b64 v[21:24], v21 offset0:70 offset1:169
	ds_read2_b64 v[25:28], v16 offset0:140 offset1:239
	s_mov_b32 s3, 0x3f3bfb3b
	s_mov_b32 s2, 0x3f5ff5aa
	;; [unrolled: 1-line block ×3, first 2 shown]
	s_waitcnt vmcnt(0) lgkmcnt(0)
	s_barrier
	v_mul_f32_e32 v32, v20, v13
	v_mul_f32_e32 v33, v19, v13
	;; [unrolled: 1-line block ×11, first 2 shown]
	v_fma_f32 v19, v19, v12, -v32
	v_fmac_f32_e32 v33, v20, v12
	v_fma_f32 v20, v21, v14, -v36
	v_fma_f32 v21, v23, v8, -v38
	v_fmac_f32_e32 v39, v24, v8
	v_fma_f32 v23, v27, v4, -v42
	v_fma_f32 v24, v29, v6, -v44
	v_mul_f32_e32 v41, v25, v11
	v_fmac_f32_e32 v37, v22, v14
	v_fma_f32 v22, v25, v10, -v40
	v_fmac_f32_e32 v43, v28, v4
	v_fmac_f32_e32 v45, v30, v6
	v_add_f32_e32 v25, v19, v24
	v_add_f32_e32 v27, v20, v23
	v_fmac_f32_e32 v41, v26, v10
	v_add_f32_e32 v26, v33, v45
	v_add_f32_e32 v28, v37, v43
	;; [unrolled: 1-line block ×4, first 2 shown]
	v_sub_f32_e32 v19, v19, v24
	v_sub_f32_e32 v24, v33, v45
	;; [unrolled: 1-line block ×4, first 2 shown]
	v_add_f32_e32 v30, v39, v41
	v_sub_f32_e32 v21, v22, v21
	v_sub_f32_e32 v22, v41, v39
	v_add_f32_e32 v33, v28, v26
	v_sub_f32_e32 v36, v27, v25
	v_sub_f32_e32 v25, v25, v29
	;; [unrolled: 1-line block ×3, first 2 shown]
	v_add_f32_e32 v29, v29, v32
	v_sub_f32_e32 v37, v28, v26
	v_sub_f32_e32 v26, v26, v30
	;; [unrolled: 1-line block ×5, first 2 shown]
	v_add_f32_e32 v30, v30, v33
	v_mul_f32_e32 v32, 0x3d64c772, v27
	v_add_f32_e32 v44, v17, v29
	v_add_f32_e32 v38, v21, v20
	;; [unrolled: 1-line block ×3, first 2 shown]
	v_sub_f32_e32 v20, v20, v19
	v_sub_f32_e32 v23, v23, v24
	v_mul_f32_e32 v33, 0x3d64c772, v28
	v_mul_f32_e32 v49, 0xbf08b237, v40
	;; [unrolled: 1-line block ×3, first 2 shown]
	v_add_f32_e32 v45, v18, v30
	v_fma_f32 v17, v36, s3, -v32
	v_mov_b32_e32 v32, v44
	v_sub_f32_e32 v21, v19, v21
	v_sub_f32_e32 v22, v24, v22
	v_add_f32_e32 v19, v38, v19
	v_add_f32_e32 v24, v39, v24
	v_mul_f32_e32 v25, 0x3f4a47b2, v25
	v_mul_f32_e32 v26, 0x3f4a47b2, v26
	;; [unrolled: 1-line block ×4, first 2 shown]
	v_fma_f32 v18, v37, s3, -v33
	v_mov_b32_e32 v33, v45
	v_fmac_f32_e32 v32, 0xbf955555, v29
	v_fma_f32 v20, v20, s2, -v49
	v_fma_f32 v23, v23, s2, -v53
	s_mov_b32 s2, 0xbeae86e6
	v_fmac_f32_e32 v33, 0xbf955555, v30
	v_fma_f32 v29, v36, s14, -v25
	v_fmac_f32_e32 v25, 0x3d64c772, v27
	v_fma_f32 v27, v37, s14, -v26
	v_fmac_f32_e32 v26, 0x3d64c772, v28
	v_fmac_f32_e32 v49, 0x3eae86e6, v21
	;; [unrolled: 1-line block ×3, first 2 shown]
	v_fma_f32 v21, v21, s2, -v38
	v_fma_f32 v22, v22, s2, -v39
	v_add_f32_e32 v17, v17, v32
	v_fmac_f32_e32 v23, 0x3ee1c552, v24
	v_add_f32_e32 v25, v25, v32
	v_add_f32_e32 v26, v26, v33
	;; [unrolled: 1-line block ×5, first 2 shown]
	v_fmac_f32_e32 v49, 0x3ee1c552, v19
	v_fmac_f32_e32 v53, 0x3ee1c552, v24
	;; [unrolled: 1-line block ×5, first 2 shown]
	v_sub_f32_e32 v38, v17, v23
	v_add_f32_e32 v40, v23, v17
	s_movk_i32 s2, 0x4d
	v_mul_u32_u24_e32 v17, 0x4d, v31
	v_add_f32_e32 v46, v53, v25
	v_sub_f32_e32 v47, v26, v49
	v_add_f32_e32 v36, v22, v28
	v_sub_f32_e32 v37, v27, v21
	v_add_f32_e32 v39, v20, v18
	v_sub_f32_e32 v41, v18, v20
	v_sub_f32_e32 v42, v28, v22
	v_add_f32_e32 v43, v21, v27
	v_sub_f32_e32 v32, v25, v53
	v_add_f32_e32 v33, v49, v26
	v_add_lshl_u32 v58, v17, v48, 3
	v_cmp_gt_u16_e64 s[2:3], s2, v56
	ds_write2_b64 v58, v[44:45], v[46:47] offset1:11
	ds_write2_b64 v58, v[36:37], v[38:39] offset0:22 offset1:33
	ds_write2_b64 v58, v[40:41], v[42:43] offset0:44 offset1:55
	ds_write_b64 v58, v[32:33] offset:528
	s_waitcnt lgkmcnt(0)
	s_barrier
	s_and_saveexec_b64 s[14:15], s[2:3]
	s_cbranch_execz .LBB0_9
; %bb.8:
	ds_read2_b64 v[44:47], v55 offset1:77
	ds_read2_b64 v[36:39], v55 offset0:154 offset1:231
	ds_read2_b64 v[40:43], v16 offset0:52 offset1:129
	v_add_u32_e32 v0, 0xc00, v55
	ds_read2_b64 v[32:35], v0 offset0:78 offset1:155
	ds_read_b64 v[0:1], v55 offset:4928
.LBB0_9:
	s_or_b64 exec, exec, s[14:15]
	s_movk_i32 s14, 0xfd98
	v_add_co_u32_e32 v16, vcc, s14, v55
	v_addc_co_u32_e64 v17, s[14:15], 0, -1, vcc
	v_cndmask_b32_e64 v17, v17, 0, s[2:3]
	v_cndmask_b32_e64 v16, v16, v55, s[2:3]
	v_lshlrev_b64 v[16:17], 3, v[16:17]
	v_mov_b32_e32 v18, s13
	v_add_co_u32_e32 v48, vcc, s12, v16
	v_addc_co_u32_e32 v49, vcc, v18, v17, vcc
	global_load_dwordx4 v[16:19], v[48:49], off offset:528
	global_load_dwordx4 v[24:27], v[48:49], off offset:544
	;; [unrolled: 1-line block ×4, first 2 shown]
	s_waitcnt lgkmcnt(4)
	v_mov_b32_e32 v48, v44
	v_mov_b32_e32 v49, v45
	s_mov_b32 s12, 0xbf248dbb
	s_waitcnt vmcnt(3)
	v_mul_f32_e32 v53, v47, v17
	v_mul_f32_e32 v54, v46, v17
	s_waitcnt lgkmcnt(3)
	v_mul_f32_e32 v59, v37, v19
	v_mul_f32_e32 v60, v36, v19
	s_waitcnt vmcnt(2) lgkmcnt(2)
	v_mul_f32_e32 v63, v41, v27
	v_mul_f32_e32 v64, v40, v27
	s_waitcnt vmcnt(1)
	v_mul_f32_e32 v65, v43, v29
	v_mul_f32_e32 v66, v42, v29
	s_waitcnt lgkmcnt(1)
	v_mul_f32_e32 v68, v32, v31
	s_waitcnt vmcnt(0)
	v_mul_f32_e32 v69, v35, v21
	v_mul_f32_e32 v70, v34, v21
	v_mul_f32_e32 v61, v39, v25
	v_mul_f32_e32 v62, v38, v25
	v_mul_f32_e32 v67, v33, v31
	s_waitcnt lgkmcnt(0)
	v_mul_f32_e32 v71, v1, v23
	v_mul_f32_e32 v72, v0, v23
	v_fma_f32 v46, v46, v16, -v53
	v_fmac_f32_e32 v54, v47, v16
	v_fma_f32 v36, v36, v18, -v59
	v_fmac_f32_e32 v60, v37, v18
	;; [unrolled: 2-line block ×4, first 2 shown]
	v_fmac_f32_e32 v68, v33, v30
	v_fma_f32 v33, v34, v20, -v69
	v_fmac_f32_e32 v70, v35, v20
	v_fma_f32 v37, v38, v24, -v61
	;; [unrolled: 2-line block ×3, first 2 shown]
	v_fma_f32 v0, v0, v22, -v71
	v_fmac_f32_e32 v72, v1, v22
	v_add_f32_e32 v63, v36, v33
	v_add_f32_e32 v65, v60, v70
	v_sub_f32_e32 v33, v36, v33
	v_sub_f32_e32 v60, v60, v70
	;; [unrolled: 1-line block ×3, first 2 shown]
	v_add_f32_e32 v71, v47, v53
	v_mov_b32_e32 v36, v44
	v_add_f32_e32 v59, v46, v0
	v_add_f32_e32 v61, v54, v72
	;; [unrolled: 1-line block ×4, first 2 shown]
	v_sub_f32_e32 v54, v54, v72
	v_sub_f32_e32 v32, v37, v32
	;; [unrolled: 1-line block ×4, first 2 shown]
	v_add_f32_e32 v72, v64, v66
	v_mul_f32_e32 v39, 0xbf248dbb, v70
	v_fmac_f32_e32 v36, 0x3f441b7d, v71
	v_mov_b32_e32 v37, v45
	v_sub_f32_e32 v46, v46, v0
	v_mul_f32_e32 v38, 0xbf248dbb, v68
	v_fmac_f32_e32 v39, 0x3f7c1c5c, v54
	v_fmac_f32_e32 v37, 0x3f441b7d, v72
	;; [unrolled: 1-line block ×6, first 2 shown]
	v_fmac_f32_e32 v36, -0.5, v67
	v_fmac_f32_e32 v38, 0xbf5db3d7, v32
	v_fmac_f32_e32 v39, 0x3eaf1d44, v60
	v_fmac_f32_e32 v37, -0.5, v69
	v_fmac_f32_e32 v36, 0xbf708fb2, v63
	v_mul_f32_e32 v0, 0x3f248dbb, v54
	v_fmac_f32_e32 v48, 0x3f441b7d, v59
	v_fmac_f32_e32 v38, 0x3eaf1d44, v33
	;; [unrolled: 1-line block ×3, first 2 shown]
	v_add_f32_e32 v36, v39, v36
	v_mul_f32_e32 v1, 0x3f248dbb, v46
	v_fmac_f32_e32 v49, 0x3f441b7d, v61
	v_fmac_f32_e32 v0, 0x3f7c1c5c, v60
	;; [unrolled: 1-line block ×3, first 2 shown]
	v_sub_f32_e32 v37, v37, v38
	v_fma_f32 v42, -2.0, v39, v36
	v_add_f32_e32 v39, v70, v54
	v_add_f32_e32 v74, v65, v61
	v_fmac_f32_e32 v1, 0x3f7c1c5c, v33
	v_fmac_f32_e32 v49, 0x3e31d0d4, v65
	;; [unrolled: 1-line block ×3, first 2 shown]
	v_fmac_f32_e32 v48, -0.5, v67
	v_fma_f32 v43, 2.0, v38, v37
	v_add_f32_e32 v38, v68, v46
	v_sub_f32_e32 v41, v39, v60
	v_add_f32_e32 v39, v45, v69
	v_add_f32_e32 v73, v63, v59
	;; [unrolled: 1-line block ×3, first 2 shown]
	v_fmac_f32_e32 v1, 0x3f5db3d7, v32
	v_fmac_f32_e32 v49, -0.5, v69
	v_fmac_f32_e32 v0, 0x3eaf1d44, v70
	v_fmac_f32_e32 v48, 0xbf708fb2, v71
	v_sub_f32_e32 v40, v38, v33
	v_add_f32_e32 v38, v44, v67
	v_add_f32_e32 v75, v71, v73
	v_fmac_f32_e32 v39, -0.5, v76
	v_fmac_f32_e32 v1, 0x3eaf1d44, v68
	v_fmac_f32_e32 v49, 0xbf708fb2, v72
	v_add_f32_e32 v34, v0, v48
	v_mul_f32_e32 v48, 0x3f5db3d7, v40
	v_fmac_f32_e32 v38, -0.5, v75
	v_fmac_f32_e32 v39, 0xbf5db3d7, v40
	v_sub_f32_e32 v35, v49, v1
	v_mul_f32_e32 v49, 0x3f5db3d7, v41
	v_fmac_f32_e32 v38, 0x3f5db3d7, v41
	v_fma_f32 v41, 2.0, v48, v39
	v_mul_f32_e32 v48, 0x3f7c1c5c, v68
	v_fma_f32 v48, v33, s12, -v48
	v_fmac_f32_e32 v48, 0x3f5db3d7, v32
	v_add_f32_e32 v32, v67, v73
	v_add_f32_e32 v33, v69, v74
	;; [unrolled: 1-line block ×6, first 2 shown]
	v_fma_f32 v40, -2.0, v49, v38
	v_mul_f32_e32 v49, 0x3f7c1c5c, v70
	v_add_f32_e32 v32, v44, v32
	v_add_f32_e32 v33, v45, v33
	v_fmac_f32_e32 v44, 0x3f441b7d, v63
	v_fmac_f32_e32 v45, 0x3f441b7d, v65
	v_fma_f32 v49, v60, s12, -v49
	v_fmac_f32_e32 v44, 0x3e31d0d4, v71
	v_fmac_f32_e32 v45, 0x3e31d0d4, v72
	v_fmac_f32_e32 v49, 0x3f5db3d7, v62
	v_fmac_f32_e32 v44, -0.5, v67
	v_fmac_f32_e32 v45, -0.5, v69
	v_fmac_f32_e32 v48, 0x3eaf1d44, v46
	v_fmac_f32_e32 v49, 0x3eaf1d44, v54
	;; [unrolled: 1-line block ×4, first 2 shown]
	v_add_f32_e32 v44, v49, v44
	v_sub_f32_e32 v45, v45, v48
	v_fma_f32 v0, -2.0, v0, v34
	v_fma_f32 v1, 2.0, v1, v35
	v_fma_f32 v46, -2.0, v49, v44
	v_fma_f32 v47, 2.0, v48, v45
	s_and_saveexec_b64 s[12:13], s[2:3]
	s_cbranch_execz .LBB0_11
; %bb.10:
	v_add_u32_e32 v48, 0x800, v55
	ds_write2_b64 v55, v[32:33], v[34:35] offset1:77
	ds_write2_b64 v55, v[36:37], v[38:39] offset0:154 offset1:231
	ds_write2_b64 v48, v[44:45], v[46:47] offset0:52 offset1:129
	v_add_u32_e32 v48, 0xc00, v55
	ds_write2_b64 v48, v[40:41], v[42:43] offset0:78 offset1:155
	ds_write_b64 v55, v[0:1] offset:4928
.LBB0_11:
	s_or_b64 exec, exec, s[12:13]
	s_waitcnt lgkmcnt(0)
	s_barrier
	s_and_saveexec_b64 s[12:13], s[0:1]
	s_cbranch_execz .LBB0_13
; %bb.12:
	v_mov_b32_e32 v48, s11
	v_add_co_u32_e32 v61, vcc, s10, v55
	v_addc_co_u32_e32 v62, vcc, 0, v48, vcc
	v_add_co_u32_e32 v48, vcc, 0x15a8, v61
	v_addc_co_u32_e32 v49, vcc, 0, v62, vcc
	;; [unrolled: 2-line block ×3, first 2 shown]
	global_load_dwordx2 v[59:60], v[53:54], off offset:1448
	global_load_dwordx2 v[79:80], v[48:49], off offset:504
	;; [unrolled: 1-line block ×4, first 2 shown]
	s_movk_i32 s14, 0x2000
	global_load_dwordx2 v[53:54], v[48:49], off offset:2016
	global_load_dwordx2 v[85:86], v[48:49], off offset:2520
	;; [unrolled: 1-line block ×5, first 2 shown]
	v_add_co_u32_e32 v48, vcc, s14, v61
	v_addc_co_u32_e32 v49, vcc, 0, v62, vcc
	global_load_dwordx2 v[93:94], v[48:49], off offset:1888
	global_load_dwordx2 v[95:96], v[48:49], off offset:2392
	ds_read_b64 v[48:49], v55
	v_add_u32_e32 v97, 0x800, v55
	v_add_u32_e32 v98, 0x1000, v55
	s_waitcnt vmcnt(10) lgkmcnt(0)
	v_mul_f32_e32 v62, v49, v60
	v_mul_f32_e32 v61, v48, v60
	v_fma_f32 v60, v48, v59, -v62
	v_fmac_f32_e32 v61, v49, v59
	ds_write_b64 v55, v[60:61]
	ds_read2_b64 v[59:62], v55 offset0:63 offset1:126
	ds_read2_b64 v[63:66], v55 offset0:189 offset1:252
	;; [unrolled: 1-line block ×5, first 2 shown]
	s_waitcnt vmcnt(9) lgkmcnt(4)
	v_mul_f32_e32 v48, v60, v80
	v_mul_f32_e32 v49, v59, v80
	s_waitcnt vmcnt(8)
	v_mul_f32_e32 v99, v62, v82
	v_mul_f32_e32 v80, v61, v82
	s_waitcnt vmcnt(7) lgkmcnt(3)
	v_mul_f32_e32 v100, v64, v84
	v_mul_f32_e32 v82, v63, v84
	s_waitcnt vmcnt(6)
	v_mul_f32_e32 v101, v66, v54
	v_mul_f32_e32 v84, v65, v54
	;; [unrolled: 6-line block ×5, first 2 shown]
	v_fma_f32 v48, v59, v79, -v48
	v_fmac_f32_e32 v49, v60, v79
	v_fma_f32 v79, v61, v81, -v99
	v_fmac_f32_e32 v80, v62, v81
	;; [unrolled: 2-line block ×10, first 2 shown]
	ds_write2_b64 v55, v[48:49], v[79:80] offset0:63 offset1:126
	ds_write2_b64 v55, v[81:82], v[83:84] offset0:189 offset1:252
	ds_write2_b64 v97, v[53:54], v[85:86] offset0:59 offset1:122
	ds_write2_b64 v97, v[87:88], v[89:90] offset0:185 offset1:248
	ds_write2_b64 v98, v[91:92], v[93:94] offset0:55 offset1:118
.LBB0_13:
	s_or_b64 exec, exec, s[12:13]
	s_waitcnt lgkmcnt(0)
	s_barrier
	s_and_saveexec_b64 s[12:13], s[0:1]
	s_cbranch_execz .LBB0_15
; %bb.14:
	v_add_u32_e32 v0, 0x400, v55
	ds_read2_b64 v[32:35], v55 offset1:63
	ds_read2_b64 v[36:39], v55 offset0:126 offset1:189
	ds_read2_b64 v[44:47], v0 offset0:124 offset1:187
	v_add_u32_e32 v0, 0x800, v55
	ds_read2_b64 v[40:43], v0 offset0:122 offset1:185
	v_add_u32_e32 v0, 0xc00, v55
	ds_read2_b64 v[0:3], v0 offset0:120 offset1:183
	ds_read_b64 v[51:52], v55 offset:5040
.LBB0_15:
	s_or_b64 exec, exec, s[12:13]
	s_waitcnt lgkmcnt(0)
	v_sub_f32_e32 v69, v35, v52
	v_add_f32_e32 v59, v51, v34
	v_add_f32_e32 v71, v52, v35
	s_mov_b32 s14, 0xbe11bafb
	v_mul_f32_e32 v78, 0xbf7d64f0, v69
	v_sub_f32_e32 v70, v37, v3
	v_mul_f32_e32 v80, 0xbe11bafb, v71
	v_fma_f32 v48, v59, s14, -v78
	v_add_f32_e32 v61, v2, v36
	v_add_f32_e32 v73, v3, v37
	v_mul_f32_e32 v81, 0x3e903f40, v70
	v_sub_f32_e32 v60, v34, v51
	v_add_f32_e32 v48, v32, v48
	v_mov_b32_e32 v49, v80
	v_mul_f32_e32 v83, 0xbf75a155, v73
	v_fma_f32 v63, v61, s16, -v81
	v_fmac_f32_e32 v49, 0xbf7d64f0, v60
	s_mov_b32 s15, 0xbf27a4f4
	v_mul_f32_e32 v82, 0xbf4178ce, v69
	v_sub_f32_e32 v62, v36, v2
	v_add_f32_e32 v48, v63, v48
	v_mov_b32_e32 v63, v83
	v_add_f32_e32 v49, v33, v49
	v_mul_f32_e32 v85, 0xbf27a4f4, v71
	v_fma_f32 v53, v59, s15, -v82
	v_fmac_f32_e32 v63, 0x3e903f40, v62
	v_mul_f32_e32 v86, 0x3f7d64f0, v70
	v_add_f32_e32 v53, v32, v53
	v_mov_b32_e32 v54, v85
	v_add_f32_e32 v49, v63, v49
	v_mul_f32_e32 v89, 0xbe11bafb, v73
	v_fma_f32 v63, v61, s14, -v86
	v_fmac_f32_e32 v54, 0xbf4178ce, v60
	v_add_f32_e32 v53, v63, v53
	v_mov_b32_e32 v63, v89
	v_add_f32_e32 v54, v33, v54
	v_fmac_f32_e32 v63, 0x3f7d64f0, v62
	v_sub_f32_e32 v72, v39, v1
	v_add_f32_e32 v54, v63, v54
	v_add_f32_e32 v63, v0, v38
	;; [unrolled: 1-line block ×3, first 2 shown]
	s_mov_b32 s17, 0x3ed4b147
	v_mul_f32_e32 v84, 0x3f68dda4, v72
	v_mul_f32_e32 v87, 0x3ed4b147, v75
	v_fma_f32 v65, v63, s17, -v84
	v_sub_f32_e32 v64, v38, v0
	v_add_f32_e32 v48, v65, v48
	v_mov_b32_e32 v65, v87
	v_fmac_f32_e32 v65, 0x3f68dda4, v64
	s_mov_b32 s18, 0x3f575c64
	v_mul_f32_e32 v90, 0xbf0a6770, v72
	v_add_f32_e32 v49, v65, v49
	v_mul_f32_e32 v93, 0x3f575c64, v75
	v_fma_f32 v65, v63, s18, -v90
	v_add_f32_e32 v53, v65, v53
	v_mov_b32_e32 v65, v93
	v_fmac_f32_e32 v65, 0xbf0a6770, v64
	v_sub_f32_e32 v74, v45, v43
	v_add_f32_e32 v54, v65, v54
	v_add_f32_e32 v65, v42, v44
	;; [unrolled: 1-line block ×3, first 2 shown]
	v_mul_f32_e32 v88, 0xbf0a6770, v74
	v_mul_f32_e32 v91, 0x3f575c64, v77
	v_fma_f32 v67, v65, s18, -v88
	v_sub_f32_e32 v66, v44, v42
	v_add_f32_e32 v48, v67, v48
	v_mov_b32_e32 v67, v91
	v_fmac_f32_e32 v67, 0xbf0a6770, v66
	v_mul_f32_e32 v94, 0xbe903f40, v74
	v_add_f32_e32 v49, v67, v49
	v_mul_f32_e32 v96, 0xbf75a155, v77
	v_fma_f32 v67, v65, s16, -v94
	v_add_f32_e32 v99, v67, v53
	v_mov_b32_e32 v53, v96
	v_sub_f32_e32 v76, v47, v41
	v_fmac_f32_e32 v53, 0xbe903f40, v66
	v_add_f32_e32 v67, v40, v46
	v_add_f32_e32 v79, v41, v47
	v_mul_f32_e32 v92, 0xbf4178ce, v76
	v_add_f32_e32 v100, v53, v54
	v_mul_f32_e32 v95, 0xbf27a4f4, v79
	v_fma_f32 v53, v67, s15, -v92
	v_sub_f32_e32 v68, v46, v40
	v_add_f32_e32 v53, v53, v48
	v_mov_b32_e32 v48, v95
	v_fmac_f32_e32 v48, 0xbf4178ce, v68
	v_mul_f32_e32 v98, 0x3ed4b147, v79
	v_add_f32_e32 v54, v48, v49
	v_mul_f32_e32 v97, 0x3f68dda4, v76
	v_mov_b32_e32 v49, v98
	v_fma_f32 v48, v67, s17, -v97
	v_fmac_f32_e32 v49, 0x3f68dda4, v68
	v_add_f32_e32 v48, v48, v99
	v_add_f32_e32 v49, v49, v100
	s_barrier
	s_and_saveexec_b64 s[12:13], s[0:1]
	s_cbranch_execz .LBB0_17
; %bb.16:
	v_mul_f32_e32 v104, 0xbf4178ce, v60
	v_mul_f32_e32 v108, 0x3f7d64f0, v62
	v_sub_f32_e32 v85, v85, v104
	v_mul_f32_e32 v112, 0xbf0a6770, v64
	v_add_f32_e32 v85, v33, v85
	v_sub_f32_e32 v89, v89, v108
	v_mul_f32_e32 v116, 0xbe903f40, v66
	v_add_f32_e32 v85, v89, v85
	v_sub_f32_e32 v89, v93, v112
	v_mul_f32_e32 v103, 0xbf27a4f4, v59
	v_mul_f32_e32 v120, 0x3f68dda4, v68
	v_add_f32_e32 v85, v89, v85
	v_sub_f32_e32 v89, v96, v116
	v_mul_f32_e32 v107, 0xbe11bafb, v61
	v_add_f32_e32 v85, v89, v85
	v_sub_f32_e32 v89, v98, v120
	v_add_f32_e32 v82, v103, v82
	v_mul_f32_e32 v111, 0x3f575c64, v63
	v_add_f32_e32 v98, v89, v85
	v_add_f32_e32 v82, v32, v82
	v_add_f32_e32 v85, v107, v86
	v_mul_f32_e32 v115, 0xbf75a155, v65
	v_add_f32_e32 v82, v85, v82
	v_add_f32_e32 v85, v111, v90
	v_mul_f32_e32 v102, 0xbf7d64f0, v60
	v_mul_f32_e32 v119, 0x3ed4b147, v67
	v_add_f32_e32 v82, v85, v82
	v_add_f32_e32 v85, v115, v94
	v_mul_f32_e32 v106, 0x3e903f40, v62
	v_add_f32_e32 v82, v85, v82
	v_add_f32_e32 v85, v119, v97
	v_sub_f32_e32 v80, v80, v102
	v_mul_f32_e32 v110, 0x3f68dda4, v64
	v_add_f32_e32 v97, v85, v82
	v_add_f32_e32 v80, v33, v80
	v_sub_f32_e32 v82, v83, v106
	v_mul_f32_e32 v114, 0xbf0a6770, v66
	v_add_f32_e32 v80, v82, v80
	v_sub_f32_e32 v82, v87, v110
	v_mul_f32_e32 v101, 0xbe11bafb, v59
	v_mul_f32_e32 v118, 0xbf4178ce, v68
	v_add_f32_e32 v80, v82, v80
	v_sub_f32_e32 v82, v91, v114
	v_mul_f32_e32 v105, 0xbf75a155, v61
	v_add_f32_e32 v80, v82, v80
	v_sub_f32_e32 v82, v95, v118
	v_add_f32_e32 v78, v101, v78
	v_mul_f32_e32 v109, 0x3ed4b147, v63
	v_add_f32_e32 v82, v82, v80
	v_add_f32_e32 v78, v32, v78
	;; [unrolled: 1-line block ×3, first 2 shown]
	v_mul_f32_e32 v113, 0x3f575c64, v65
	v_add_f32_e32 v78, v80, v78
	v_add_f32_e32 v80, v109, v84
	v_mul_f32_e32 v117, 0xbf27a4f4, v67
	v_add_f32_e32 v78, v80, v78
	v_add_f32_e32 v80, v113, v88
	;; [unrolled: 1-line block ×5, first 2 shown]
	v_mul_f32_e32 v78, 0x3ed4b147, v71
	v_mov_b32_e32 v80, v78
	v_mul_f32_e32 v85, 0xbf27a4f4, v73
	v_fmac_f32_e32 v80, 0x3f68dda4, v60
	v_mov_b32_e32 v83, v85
	v_add_f32_e32 v80, v33, v80
	v_fmac_f32_e32 v83, 0x3f4178ce, v62
	v_mul_f32_e32 v86, 0xbf75a155, v75
	v_add_f32_e32 v35, v35, v33
	v_add_f32_e32 v80, v83, v80
	v_mov_b32_e32 v83, v86
	v_add_f32_e32 v35, v37, v35
	v_fmac_f32_e32 v83, 0xbe903f40, v64
	v_mul_f32_e32 v87, 0xbe11bafb, v77
	v_add_f32_e32 v35, v39, v35
	v_add_f32_e32 v80, v83, v80
	v_mov_b32_e32 v83, v87
	v_add_f32_e32 v35, v45, v35
	v_mul_f32_e32 v121, 0xbf75a155, v71
	v_fmac_f32_e32 v83, 0xbf7d64f0, v66
	v_mul_f32_e32 v88, 0x3f575c64, v79
	v_add_f32_e32 v35, v47, v35
	v_mov_b32_e32 v99, v121
	v_mul_f32_e32 v122, 0x3f575c64, v73
	v_add_f32_e32 v80, v83, v80
	v_mov_b32_e32 v83, v88
	v_add_f32_e32 v35, v41, v35
	v_fmac_f32_e32 v99, 0x3e903f40, v60
	v_mov_b32_e32 v100, v122
	v_fmac_f32_e32 v83, 0xbf0a6770, v68
	v_add_f32_e32 v35, v43, v35
	v_add_f32_e32 v99, v33, v99
	v_fmac_f32_e32 v100, 0xbf0a6770, v62
	v_mul_f32_e32 v123, 0xbf27a4f4, v75
	v_add_f32_e32 v84, v83, v80
	v_mul_f32_e32 v80, 0xbf68dda4, v69
	v_add_f32_e32 v1, v1, v35
	v_add_f32_e32 v99, v100, v99
	v_mov_b32_e32 v100, v123
	v_mov_b32_e32 v83, v80
	v_mul_f32_e32 v89, 0xbf4178ce, v70
	v_add_f32_e32 v1, v3, v1
	v_add_f32_e32 v3, v34, v32
	v_fmac_f32_e32 v100, 0x3f4178ce, v64
	v_mul_f32_e32 v124, 0x3ed4b147, v77
	v_fmac_f32_e32 v83, 0x3ed4b147, v59
	v_mov_b32_e32 v90, v89
	v_add_f32_e32 v3, v36, v3
	v_add_f32_e32 v99, v100, v99
	v_mov_b32_e32 v100, v124
	v_add_f32_e32 v83, v32, v83
	v_fmac_f32_e32 v90, 0xbf27a4f4, v61
	v_add_f32_e32 v3, v38, v3
	v_fmac_f32_e32 v100, 0xbf68dda4, v66
	v_mul_f32_e32 v125, 0xbe11bafb, v79
	v_add_f32_e32 v83, v90, v83
	v_mul_f32_e32 v90, 0x3e903f40, v72
	v_add_f32_e32 v3, v44, v3
	v_add_f32_e32 v99, v100, v99
	v_mov_b32_e32 v100, v125
	v_mov_b32_e32 v91, v90
	v_add_f32_e32 v3, v46, v3
	v_fmac_f32_e32 v100, 0x3f7d64f0, v68
	v_mul_f32_e32 v126, 0xbe903f40, v69
	v_fmac_f32_e32 v91, 0xbf75a155, v63
	v_add_f32_e32 v3, v40, v3
	v_add_f32_e32 v100, v100, v99
	v_mov_b32_e32 v99, v126
	v_mul_f32_e32 v127, 0x3f0a6770, v70
	v_add_f32_e32 v83, v91, v83
	v_mul_f32_e32 v91, 0x3f7d64f0, v74
	v_add_f32_e32 v3, v42, v3
	v_fmac_f32_e32 v99, 0xbf75a155, v59
	v_mov_b32_e32 v128, v127
	v_mov_b32_e32 v92, v91
	v_add_f32_e32 v0, v0, v3
	v_fmac_f32_e32 v121, 0xbe903f40, v60
	v_add_f32_e32 v99, v32, v99
	v_fmac_f32_e32 v128, 0x3f575c64, v61
	v_fmac_f32_e32 v92, 0xbe11bafb, v65
	v_add_f32_e32 v0, v2, v0
	v_add_f32_e32 v2, v33, v121
	v_fmac_f32_e32 v122, 0x3f0a6770, v62
	v_add_f32_e32 v99, v128, v99
	v_mul_f32_e32 v128, 0xbf4178ce, v72
	v_add_f32_e32 v83, v92, v83
	v_mul_f32_e32 v92, 0x3f0a6770, v76
	v_add_f32_e32 v2, v122, v2
	v_fmac_f32_e32 v123, 0xbf4178ce, v64
	v_mov_b32_e32 v129, v128
	v_mov_b32_e32 v93, v92
	v_add_f32_e32 v2, v123, v2
	v_fmac_f32_e32 v124, 0x3f68dda4, v66
	v_fmac_f32_e32 v129, 0xbf27a4f4, v63
	;; [unrolled: 1-line block ×3, first 2 shown]
	v_add_f32_e32 v2, v124, v2
	v_fmac_f32_e32 v125, 0xbf7d64f0, v68
	v_add_f32_e32 v99, v129, v99
	v_mul_f32_e32 v129, 0x3f68dda4, v74
	v_add_f32_e32 v83, v93, v83
	v_mul_f32_e32 v93, 0x3f575c64, v71
	v_add_f32_e32 v3, v125, v2
	v_fma_f32 v2, v59, s16, -v126
	v_mov_b32_e32 v130, v129
	v_mov_b32_e32 v71, v93
	v_mul_f32_e32 v73, 0x3ed4b147, v73
	v_add_f32_e32 v2, v32, v2
	v_fma_f32 v34, v61, s18, -v127
	v_fmac_f32_e32 v130, 0x3ed4b147, v65
	v_fmac_f32_e32 v71, 0x3f0a6770, v60
	v_mov_b32_e32 v94, v73
	v_add_f32_e32 v2, v34, v2
	v_fma_f32 v34, v63, s15, -v128
	v_add_f32_e32 v99, v130, v99
	v_mul_f32_e32 v130, 0xbf7d64f0, v76
	v_add_f32_e32 v71, v33, v71
	v_fmac_f32_e32 v94, 0x3f68dda4, v62
	v_mul_f32_e32 v75, 0xbe11bafb, v75
	v_add_f32_e32 v2, v34, v2
	v_fma_f32 v34, v65, s17, -v129
	v_add_f32_e32 v71, v94, v71
	v_mov_b32_e32 v94, v75
	v_add_f32_e32 v2, v34, v2
	v_fma_f32 v34, v67, s14, -v130
	v_fmac_f32_e32 v78, 0xbf68dda4, v60
	v_fmac_f32_e32 v94, 0x3f7d64f0, v64
	v_mul_f32_e32 v77, 0xbf27a4f4, v77
	v_add_f32_e32 v2, v34, v2
	v_add_f32_e32 v34, v33, v78
	v_fmac_f32_e32 v85, 0xbf4178ce, v62
	v_add_f32_e32 v71, v94, v71
	v_mov_b32_e32 v94, v77
	v_add_f32_e32 v34, v85, v34
	v_fmac_f32_e32 v86, 0x3e903f40, v64
	v_fmac_f32_e32 v94, 0x3f4178ce, v66
	v_mul_f32_e32 v79, 0xbf75a155, v79
	v_add_f32_e32 v34, v86, v34
	v_fmac_f32_e32 v87, 0x3f7d64f0, v66
	v_add_f32_e32 v71, v94, v71
	v_mov_b32_e32 v94, v79
	v_add_f32_e32 v34, v87, v34
	v_fmac_f32_e32 v88, 0x3f0a6770, v68
	v_fmac_f32_e32 v94, 0x3e903f40, v68
	v_mul_f32_e32 v69, 0xbf0a6770, v69
	v_add_f32_e32 v35, v88, v34
	v_fma_f32 v34, v59, s17, -v80
	v_add_f32_e32 v71, v94, v71
	v_mov_b32_e32 v94, v69
	v_mul_f32_e32 v95, 0xbf68dda4, v70
	v_add_f32_e32 v34, v32, v34
	v_fma_f32 v36, v61, s15, -v89
	v_fmac_f32_e32 v94, 0x3f575c64, v59
	v_mov_b32_e32 v70, v95
	v_add_f32_e32 v34, v36, v34
	v_fma_f32 v36, v63, s16, -v90
	v_add_f32_e32 v94, v32, v94
	v_fmac_f32_e32 v70, 0x3ed4b147, v61
	v_mul_f32_e32 v72, 0xbf7d64f0, v72
	v_add_f32_e32 v34, v36, v34
	v_fma_f32 v36, v65, s14, -v91
	v_add_f32_e32 v70, v70, v94
	v_mov_b32_e32 v94, v72
	v_add_f32_e32 v34, v36, v34
	v_fma_f32 v36, v67, s18, -v92
	v_fmac_f32_e32 v94, 0xbe11bafb, v63
	v_mul_f32_e32 v74, 0xbf4178ce, v74
	v_add_f32_e32 v34, v36, v34
	v_fma_f32 v36, v59, s18, -v69
	v_add_f32_e32 v70, v94, v70
	v_mov_b32_e32 v94, v74
	v_fmac_f32_e32 v93, 0xbf0a6770, v60
	v_add_f32_e32 v32, v32, v36
	v_fma_f32 v36, v61, s17, -v95
	v_fmac_f32_e32 v94, 0xbf27a4f4, v65
	v_mul_f32_e32 v76, 0xbe903f40, v76
	v_add_f32_e32 v33, v33, v93
	v_fmac_f32_e32 v73, 0xbf68dda4, v62
	v_add_f32_e32 v32, v36, v32
	v_fma_f32 v36, v63, s14, -v72
	v_add_f32_e32 v70, v94, v70
	v_mov_b32_e32 v94, v76
	v_add_f32_e32 v33, v73, v33
	v_fmac_f32_e32 v75, 0xbf7d64f0, v64
	v_add_f32_e32 v32, v36, v32
	v_fma_f32 v36, v65, s15, -v74
	v_mov_b32_e32 v131, v130
	v_fmac_f32_e32 v94, 0xbf75a155, v67
	v_add_f32_e32 v33, v75, v33
	v_fmac_f32_e32 v77, 0xbf4178ce, v66
	v_add_f32_e32 v32, v36, v32
	v_fma_f32 v36, v67, s16, -v76
	v_fmac_f32_e32 v131, 0xbe11bafb, v67
	v_add_f32_e32 v70, v94, v70
	v_add_f32_e32 v1, v52, v1
	;; [unrolled: 1-line block ×4, first 2 shown]
	v_fmac_f32_e32 v79, 0xbe903f40, v68
	v_add_f32_e32 v32, v36, v32
	v_lshlrev_b32_e32 v36, 3, v57
	v_add_f32_e32 v99, v131, v99
	v_add_f32_e32 v33, v79, v33
	ds_write2_b64 v36, v[0:1], v[70:71] offset1:1
	ds_write2_b64 v36, v[83:84], v[81:82] offset0:2 offset1:3
	ds_write2_b64 v36, v[97:98], v[99:100] offset0:4 offset1:5
	;; [unrolled: 1-line block ×4, first 2 shown]
	ds_write_b64 v36, v[32:33] offset:80
.LBB0_17:
	s_or_b64 exec, exec, s[12:13]
	s_waitcnt lgkmcnt(0)
	s_barrier
	ds_read2_b64 v[0:3], v55 offset1:99
	v_add_u32_e32 v32, 0x400, v55
	ds_read2_b64 v[33:36], v32 offset0:70 offset1:169
	v_add_u32_e32 v32, 0x800, v55
	ds_read2_b64 v[37:40], v32 offset0:140 offset1:239
	ds_read_b64 v[41:42], v55 offset:4752
	s_waitcnt lgkmcnt(3)
	v_mul_f32_e32 v43, v13, v3
	v_fmac_f32_e32 v43, v12, v2
	v_mul_f32_e32 v2, v13, v2
	s_waitcnt lgkmcnt(2)
	v_mul_f32_e32 v13, v9, v36
	v_mul_f32_e32 v9, v9, v35
	v_fmac_f32_e32 v13, v8, v35
	v_fma_f32 v8, v8, v36, -v9
	s_waitcnt lgkmcnt(1)
	v_mul_f32_e32 v9, v11, v38
	v_mul_f32_e32 v11, v11, v37
	v_fmac_f32_e32 v9, v10, v37
	v_fma_f32 v10, v10, v38, -v11
	v_mul_f32_e32 v11, v5, v40
	v_mul_f32_e32 v5, v5, v39
	v_fma_f32 v2, v12, v3, -v2
	v_mul_f32_e32 v3, v15, v34
	v_fmac_f32_e32 v11, v4, v39
	v_fma_f32 v4, v4, v40, -v5
	s_waitcnt lgkmcnt(0)
	v_mul_f32_e32 v5, v7, v42
	v_mul_f32_e32 v7, v7, v41
	v_fmac_f32_e32 v3, v14, v33
	v_mul_f32_e32 v12, v15, v33
	v_fmac_f32_e32 v5, v6, v41
	v_fma_f32 v6, v6, v42, -v7
	v_fma_f32 v12, v14, v34, -v12
	v_add_f32_e32 v7, v43, v5
	v_add_f32_e32 v14, v2, v6
	v_sub_f32_e32 v2, v2, v6
	v_add_f32_e32 v6, v3, v11
	v_add_f32_e32 v15, v12, v4
	v_sub_f32_e32 v3, v3, v11
	v_sub_f32_e32 v4, v12, v4
	v_add_f32_e32 v11, v13, v9
	v_add_f32_e32 v12, v8, v10
	v_sub_f32_e32 v8, v10, v8
	v_add_f32_e32 v10, v6, v7
	v_sub_f32_e32 v9, v9, v13
	v_add_f32_e32 v13, v15, v14
	v_add_f32_e32 v10, v11, v10
	v_sub_f32_e32 v33, v6, v7
	v_sub_f32_e32 v7, v7, v11
	;; [unrolled: 1-line block ×3, first 2 shown]
	v_add_f32_e32 v11, v12, v13
	v_add_f32_e32 v0, v0, v10
	v_sub_f32_e32 v34, v15, v14
	v_sub_f32_e32 v14, v14, v12
	;; [unrolled: 1-line block ×3, first 2 shown]
	v_add_f32_e32 v1, v1, v11
	v_mov_b32_e32 v39, v0
	v_sub_f32_e32 v5, v43, v5
	v_add_f32_e32 v35, v9, v3
	v_add_f32_e32 v36, v8, v4
	v_sub_f32_e32 v37, v9, v3
	v_sub_f32_e32 v38, v8, v4
	v_mul_f32_e32 v12, 0x3f4a47b2, v14
	v_mul_f32_e32 v13, 0x3d64c772, v6
	;; [unrolled: 1-line block ×3, first 2 shown]
	v_fmac_f32_e32 v39, 0xbf955555, v10
	v_mov_b32_e32 v10, v1
	s_mov_b32 s13, 0x3f3bfb3b
	v_sub_f32_e32 v9, v5, v9
	v_sub_f32_e32 v8, v2, v8
	;; [unrolled: 1-line block ×4, first 2 shown]
	v_add_f32_e32 v5, v35, v5
	v_add_f32_e32 v2, v36, v2
	v_mul_f32_e32 v7, 0x3f4a47b2, v7
	v_mul_f32_e32 v35, 0x3f08b237, v37
	;; [unrolled: 1-line block ×3, first 2 shown]
	s_mov_b32 s12, 0xbf5ff5aa
	v_fmac_f32_e32 v10, 0xbf955555, v11
	v_fma_f32 v11, v33, s13, -v13
	v_fma_f32 v13, v34, s13, -v14
	s_mov_b32 s13, 0xbf3bfb3b
	v_mul_f32_e32 v37, 0xbf5ff5aa, v3
	v_mul_f32_e32 v38, 0xbf5ff5aa, v4
	v_fma_f32 v14, v33, s13, -v7
	v_fmac_f32_e32 v7, 0x3d64c772, v6
	v_fma_f32 v6, v34, s13, -v12
	v_fmac_f32_e32 v12, 0x3d64c772, v15
	v_fma_f32 v15, v3, s12, -v35
	v_fma_f32 v33, v4, s12, -v36
	s_mov_b32 s12, 0x3eae86e6
	v_fmac_f32_e32 v35, 0xbeae86e6, v9
	v_fmac_f32_e32 v36, 0xbeae86e6, v8
	v_fma_f32 v34, v9, s12, -v37
	v_fma_f32 v37, v8, s12, -v38
	v_add_f32_e32 v38, v7, v39
	v_add_f32_e32 v12, v12, v10
	;; [unrolled: 1-line block ×6, first 2 shown]
	v_fmac_f32_e32 v35, 0xbee1c552, v5
	v_fmac_f32_e32 v36, 0xbee1c552, v2
	;; [unrolled: 1-line block ×6, first 2 shown]
	v_add_f32_e32 v2, v36, v38
	v_sub_f32_e32 v3, v12, v35
	v_add_f32_e32 v4, v37, v11
	v_sub_f32_e32 v5, v13, v34
	v_sub_f32_e32 v6, v8, v33
	v_add_f32_e32 v7, v15, v9
	v_add_f32_e32 v8, v33, v8
	v_sub_f32_e32 v9, v9, v15
	v_sub_f32_e32 v10, v11, v37
	v_add_f32_e32 v11, v34, v13
	v_sub_f32_e32 v46, v38, v36
	v_add_f32_e32 v47, v35, v12
	s_barrier
	ds_write2_b64 v58, v[0:1], v[2:3] offset1:11
	ds_write2_b64 v58, v[4:5], v[6:7] offset0:22 offset1:33
	ds_write2_b64 v58, v[8:9], v[10:11] offset0:44 offset1:55
	ds_write_b64 v58, v[46:47] offset:528
	s_waitcnt lgkmcnt(0)
	s_barrier
	s_and_saveexec_b64 s[12:13], s[2:3]
	s_cbranch_execz .LBB0_19
; %bb.18:
	ds_read2_b64 v[0:3], v55 offset1:77
	ds_read2_b64 v[4:7], v55 offset0:154 offset1:231
	ds_read2_b64 v[8:11], v32 offset0:52 offset1:129
	v_add_u32_e32 v12, 0xc00, v55
	ds_read2_b64 v[46:49], v12 offset0:78 offset1:155
	ds_read_b64 v[53:54], v55 offset:4928
.LBB0_19:
	s_or_b64 exec, exec, s[12:13]
	s_and_saveexec_b64 s[12:13], s[2:3]
	s_cbranch_execz .LBB0_21
; %bb.20:
	s_waitcnt lgkmcnt(3)
	v_mul_f32_e32 v14, v25, v7
	v_mul_f32_e32 v12, v17, v3
	v_fmac_f32_e32 v14, v24, v6
	v_mul_f32_e32 v34, v19, v5
	s_waitcnt lgkmcnt(2)
	v_mul_f32_e32 v37, v27, v9
	v_mul_f32_e32 v6, v25, v6
	v_fmac_f32_e32 v12, v16, v2
	v_fmac_f32_e32 v34, v18, v4
	s_waitcnt lgkmcnt(1)
	v_mul_f32_e32 v35, v21, v49
	v_fmac_f32_e32 v37, v26, v8
	v_mul_f32_e32 v21, v21, v48
	v_mul_f32_e32 v4, v19, v4
	;; [unrolled: 1-line block ×3, first 2 shown]
	v_fma_f32 v6, v24, v7, -v6
	s_waitcnt lgkmcnt(0)
	v_mul_f32_e32 v7, v23, v53
	v_mul_f32_e32 v2, v17, v2
	v_fmac_f32_e32 v35, v20, v48
	v_mul_f32_e32 v38, v29, v11
	v_fma_f32 v20, v20, v49, -v21
	v_fma_f32 v4, v18, v5, -v4
	;; [unrolled: 1-line block ×3, first 2 shown]
	v_mul_f32_e32 v9, v31, v46
	v_fma_f32 v7, v22, v54, -v7
	v_fma_f32 v2, v16, v3, -v2
	v_mul_f32_e32 v13, v23, v54
	v_fmac_f32_e32 v38, v28, v10
	v_add_f32_e32 v18, v20, v4
	v_mul_f32_e32 v10, v29, v10
	v_fma_f32 v9, v30, v47, -v9
	v_add_f32_e32 v16, v7, v2
	v_fmac_f32_e32 v13, v22, v53
	v_fma_f32 v10, v28, v11, -v10
	v_add_f32_e32 v21, v9, v6
	v_add_f32_e32 v11, v18, v16
	v_sub_f32_e32 v32, v12, v13
	v_sub_f32_e32 v39, v37, v38
	v_add_f32_e32 v19, v10, v8
	v_sub_f32_e32 v23, v6, v9
	v_add_f32_e32 v6, v21, v11
	v_mul_f32_e32 v15, v31, v47
	v_sub_f32_e32 v36, v34, v35
	v_sub_f32_e32 v24, v8, v10
	v_add_f32_e32 v6, v8, v6
	v_add_f32_e32 v8, v39, v32
	v_add_f32_e32 v9, v21, v1
	v_add_f32_e32 v11, v19, v11
	v_fmac_f32_e32 v15, v30, v46
	v_sub_f32_e32 v22, v2, v7
	v_add_f32_e32 v25, v35, v34
	v_add_f32_e32 v28, v13, v12
	v_sub_f32_e32 v8, v8, v36
	v_fmac_f32_e32 v9, -0.5, v11
	v_sub_f32_e32 v20, v4, v20
	v_add_f32_e32 v26, v38, v37
	v_add_f32_e32 v27, v15, v14
	;; [unrolled: 1-line block ×4, first 2 shown]
	v_mul_f32_e32 v12, 0x3f5db3d7, v8
	v_fmac_f32_e32 v9, 0x3f5db3d7, v8
	v_add_f32_e32 v8, v24, v22
	v_add_f32_e32 v7, v1, v6
	;; [unrolled: 1-line block ×3, first 2 shown]
	v_fma_f32 v11, -2.0, v12, v9
	v_sub_f32_e32 v12, v8, v20
	v_add_f32_e32 v8, v27, v0
	v_add_f32_e32 v10, v26, v10
	v_fmac_f32_e32 v8, -0.5, v10
	v_mul_f32_e32 v13, 0x3f5db3d7, v12
	v_fmac_f32_e32 v8, 0xbf5db3d7, v12
	v_fma_f32 v10, 2.0, v13, v8
	v_mov_b32_e32 v13, v1
	v_mul_f32_e32 v12, 0xbf248dbb, v39
	v_fmac_f32_e32 v13, 0x3f441b7d, v19
	v_sub_f32_e32 v33, v14, v15
	v_fmac_f32_e32 v12, 0x3f7c1c5c, v32
	v_fmac_f32_e32 v13, 0x3e31d0d4, v16
	;; [unrolled: 1-line block ×3, first 2 shown]
	v_fmac_f32_e32 v13, -0.5, v21
	s_mov_b32 s2, 0xbf248dbb
	v_mul_f32_e32 v2, 0x3f7c1c5c, v24
	v_add_f32_e32 v6, v37, v6
	v_fmac_f32_e32 v12, 0x3eaf1d44, v36
	v_fmac_f32_e32 v13, 0xbf708fb2, v18
	v_mov_b32_e32 v5, v1
	v_fma_f32 v4, v20, s2, -v2
	v_mov_b32_e32 v2, v0
	v_add_f32_e32 v6, v38, v6
	v_add_f32_e32 v13, v12, v13
	v_fmac_f32_e32 v1, 0x3f441b7d, v16
	v_mul_f32_e32 v40, 0x3f7c1c5c, v39
	v_fmac_f32_e32 v5, 0x3f441b7d, v18
	v_fmac_f32_e32 v2, 0x3f441b7d, v25
	v_add_f32_e32 v6, v0, v6
	v_fma_f32 v15, -2.0, v12, v13
	v_mov_b32_e32 v12, v0
	v_mul_f32_e32 v17, 0x3f248dbb, v32
	v_fmac_f32_e32 v1, 0x3e31d0d4, v18
	v_mul_f32_e32 v18, 0x3f248dbb, v22
	v_fmac_f32_e32 v0, 0x3f441b7d, v28
	v_fma_f32 v40, v36, s2, -v40
	v_fmac_f32_e32 v5, 0x3e31d0d4, v19
	v_fmac_f32_e32 v2, 0x3e31d0d4, v26
	v_mul_f32_e32 v14, 0xbf248dbb, v24
	v_fmac_f32_e32 v12, 0x3f441b7d, v26
	v_fmac_f32_e32 v17, 0x3f7c1c5c, v36
	;; [unrolled: 1-line block ×5, first 2 shown]
	v_fmac_f32_e32 v5, -0.5, v21
	v_fmac_f32_e32 v4, 0x3f5db3d7, v23
	v_fmac_f32_e32 v2, -0.5, v27
	v_fmac_f32_e32 v14, 0x3f7c1c5c, v22
	v_fmac_f32_e32 v12, 0x3e31d0d4, v28
	;; [unrolled: 1-line block ×3, first 2 shown]
	v_fmac_f32_e32 v1, -0.5, v21
	v_fmac_f32_e32 v18, 0x3f5db3d7, v23
	v_fmac_f32_e32 v0, -0.5, v27
	v_fmac_f32_e32 v40, 0x3eaf1d44, v32
	v_fmac_f32_e32 v5, 0xbf708fb2, v16
	;; [unrolled: 1-line block ×5, first 2 shown]
	v_fmac_f32_e32 v12, -0.5, v27
	v_fmac_f32_e32 v17, 0x3eaf1d44, v39
	v_fmac_f32_e32 v1, 0xbf708fb2, v19
	;; [unrolled: 1-line block ×4, first 2 shown]
	v_add_f32_e32 v3, v40, v5
	v_sub_f32_e32 v2, v2, v4
	v_fmac_f32_e32 v14, 0x3eaf1d44, v20
	v_fmac_f32_e32 v12, 0xbf708fb2, v25
	v_add_f32_e32 v1, v17, v1
	v_sub_f32_e32 v0, v0, v18
	v_fma_f32 v5, -2.0, v40, v3
	v_fma_f32 v4, 2.0, v4, v2
	v_sub_f32_e32 v12, v12, v14
	v_mov_b32_e32 v16, v0
	ds_write2_b64 v55, v[6:7], v[0:1] offset1:77
	ds_write2_b64 v55, v[12:13], v[8:9] offset0:154 offset1:231
	v_add_u32_e32 v0, 0x800, v55
	v_fma_f32 v14, 2.0, v14, v12
	ds_write2_b64 v0, v[2:3], v[4:5] offset0:52 offset1:129
	v_add_u32_e32 v0, 0xc00, v55
	v_fma_f32 v17, -2.0, v17, v1
	v_fmac_f32_e32 v16, 2.0, v18
	ds_write2_b64 v0, v[10:11], v[14:15] offset0:78 offset1:155
	ds_write_b64 v55, v[16:17] offset:4928
.LBB0_21:
	s_or_b64 exec, exec, s[12:13]
	s_waitcnt lgkmcnt(0)
	s_barrier
	s_and_b64 exec, exec, s[0:1]
	s_cbranch_execz .LBB0_23
; %bb.22:
	global_load_dwordx2 v[8:9], v55, s[10:11]
	global_load_dwordx2 v[10:11], v55, s[10:11] offset:504
	global_load_dwordx2 v[12:13], v55, s[10:11] offset:1008
	;; [unrolled: 1-line block ×4, first 2 shown]
	ds_read_b64 v[18:19], v55
	ds_read2_b64 v[0:3], v55 offset0:63 offset1:126
	ds_read2_b64 v[4:7], v55 offset0:189 offset1:252
	global_load_dwordx2 v[24:25], v55, s[10:11] offset:2520
	global_load_dwordx2 v[26:27], v55, s[10:11] offset:3024
	;; [unrolled: 1-line block ×4, first 2 shown]
	v_mad_u64_u32 v[20:21], s[0:1], s6, v50, 0
	v_mad_u64_u32 v[22:23], s[2:3], s4, v56, 0
	v_mov_b32_e32 v32, s11
	s_mul_i32 s3, s5, 0x1f8
	s_mul_hi_u32 s6, s4, 0x1f8
	v_add_co_u32_e32 v36, vcc, s10, v55
	v_addc_co_u32_e32 v37, vcc, 0, v32, vcc
	s_add_i32 s3, s6, s3
	v_mad_u64_u32 v[32:33], s[6:7], s7, v50, v[21:22]
	s_mul_i32 s2, s4, 0x1f8
	v_mov_b32_e32 v35, s9
	v_mov_b32_e32 v21, v32
	v_lshlrev_b64 v[20:21], 3, v[20:21]
	v_mov_b32_e32 v38, s3
	v_add_co_u32_e32 v20, vcc, s8, v20
	v_addc_co_u32_e32 v21, vcc, v35, v21, vcc
	s_mov_b32 s0, 0x5e918c
	s_mov_b32 s1, 0x3f57a463
	s_waitcnt vmcnt(7) lgkmcnt(1)
	v_mul_f32_e32 v35, v1, v11
	v_mul_f32_e32 v11, v0, v11
	s_waitcnt vmcnt(5) lgkmcnt(0)
	v_mul_f32_e32 v39, v5, v15
	v_mul_f32_e32 v15, v4, v15
	s_waitcnt vmcnt(3)
	v_mad_u64_u32 v[33:34], s[4:5], s5, v56, v[23:24]
	v_mov_b32_e32 v34, s3
	v_fmac_f32_e32 v35, v0, v10
	v_mov_b32_e32 v23, v33
	v_lshlrev_b64 v[22:23], 3, v[22:23]
	v_fmac_f32_e32 v39, v4, v14
	v_add_co_u32_e32 v20, vcc, v20, v22
	v_addc_co_u32_e32 v21, vcc, v21, v23, vcc
	v_add_co_u32_e32 v22, vcc, s2, v20
	v_addc_co_u32_e32 v23, vcc, v21, v34, vcc
	v_add_co_u32_e32 v32, vcc, s2, v22
	v_mul_f32_e32 v34, v19, v9
	v_mul_f32_e32 v9, v18, v9
	v_addc_co_u32_e32 v33, vcc, v23, v38, vcc
	v_mul_f32_e32 v38, v3, v13
	v_mul_f32_e32 v13, v2, v13
	v_fmac_f32_e32 v34, v18, v8
	v_fma_f32 v8, v8, v19, -v9
	v_fma_f32 v9, v10, v1, -v11
	v_fmac_f32_e32 v38, v2, v12
	v_fma_f32 v12, v12, v3, -v13
	v_cvt_f64_f32_e32 v[0:1], v34
	v_cvt_f64_f32_e32 v[2:3], v8
	v_fma_f32 v18, v14, v5, -v15
	v_cvt_f64_f32_e32 v[4:5], v35
	v_cvt_f64_f32_e32 v[8:9], v9
	v_cvt_f64_f32_e32 v[10:11], v38
	v_cvt_f64_f32_e32 v[12:13], v12
	v_mul_f64 v[0:1], v[0:1], s[0:1]
	v_mul_f64 v[2:3], v[2:3], s[0:1]
	;; [unrolled: 1-line block ×6, first 2 shown]
	v_mul_f32_e32 v40, v7, v17
	v_fmac_f32_e32 v40, v6, v16
	v_cvt_f32_f64_e32 v0, v[0:1]
	v_cvt_f32_f64_e32 v1, v[2:3]
	;; [unrolled: 1-line block ×6, first 2 shown]
	global_store_dwordx2 v[20:21], v[0:1], off
	global_store_dwordx2 v[22:23], v[2:3], off
	;; [unrolled: 1-line block ×3, first 2 shown]
	v_cvt_f64_f32_e32 v[0:1], v40
	s_movk_i32 s4, 0x1000
	v_cvt_f64_f32_e32 v[14:15], v39
	v_cvt_f64_f32_e32 v[18:19], v18
	v_mul_f64 v[8:9], v[0:1], s[0:1]
	v_mul_f32_e32 v0, v6, v17
	v_add_co_u32_e32 v6, vcc, s4, v36
	v_fma_f32 v0, v16, v7, -v0
	v_addc_co_u32_e32 v7, vcc, 0, v37, vcc
	global_load_dwordx2 v[10:11], v[6:7], off offset:440
	v_mul_f64 v[14:15], v[14:15], s[0:1]
	global_load_dwordx2 v[6:7], v[6:7], off offset:944
	v_mul_f64 v[18:19], v[18:19], s[0:1]
	v_cvt_f64_f32_e32 v[0:1], v0
	v_add_u32_e32 v16, 0x800, v55
	v_mov_b32_e32 v17, s3
	v_mul_f64 v[12:13], v[0:1], s[0:1]
	ds_read2_b64 v[0:3], v16 offset0:59 offset1:122
	v_cvt_f32_f64_e32 v4, v[14:15]
	v_cvt_f32_f64_e32 v5, v[18:19]
	v_mov_b32_e32 v15, s3
	v_add_co_u32_e32 v14, vcc, s2, v32
	v_addc_co_u32_e32 v15, vcc, v33, v15, vcc
	global_store_dwordx2 v[14:15], v[4:5], off
	s_waitcnt lgkmcnt(0)
	v_mul_f32_e32 v5, v1, v25
	v_fmac_f32_e32 v5, v0, v24
	v_mul_f32_e32 v0, v0, v25
	v_fma_f32 v0, v24, v1, -v0
	v_cvt_f32_f64_e32 v4, v[8:9]
	v_cvt_f64_f32_e32 v[8:9], v5
	v_cvt_f64_f32_e32 v[0:1], v0
	v_cvt_f32_f64_e32 v5, v[12:13]
	v_mov_b32_e32 v13, s3
	v_add_co_u32_e32 v12, vcc, s2, v14
	v_mul_f64 v[8:9], v[8:9], s[0:1]
	v_addc_co_u32_e32 v13, vcc, v15, v13, vcc
	v_mul_f64 v[0:1], v[0:1], s[0:1]
	global_store_dwordx2 v[12:13], v[4:5], off
	s_waitcnt vmcnt(9)
	v_mul_f32_e32 v5, v3, v27
	v_fmac_f32_e32 v5, v2, v26
	v_mul_f32_e32 v2, v2, v27
	v_fma_f32 v2, v26, v3, -v2
	v_cvt_f64_f32_e32 v[2:3], v2
	v_cvt_f32_f64_e32 v4, v[8:9]
	v_cvt_f64_f32_e32 v[8:9], v5
	v_cvt_f32_f64_e32 v5, v[0:1]
	v_mul_f64 v[14:15], v[2:3], s[0:1]
	ds_read2_b64 v[0:3], v16 offset0:185 offset1:248
	v_add_co_u32_e32 v12, vcc, s2, v12
	v_addc_co_u32_e32 v13, vcc, v13, v17, vcc
	global_store_dwordx2 v[12:13], v[4:5], off
	s_waitcnt vmcnt(9) lgkmcnt(0)
	v_mul_f32_e32 v4, v1, v29
	v_fmac_f32_e32 v4, v0, v28
	v_cvt_f64_f32_e32 v[4:5], v4
	v_mul_f64 v[8:9], v[8:9], s[0:1]
	v_mul_f32_e32 v0, v0, v29
	v_fma_f32 v0, v28, v1, -v0
	v_mul_f64 v[4:5], v[4:5], s[0:1]
	v_cvt_f64_f32_e32 v[0:1], v0
	v_add_co_u32_e32 v12, vcc, s2, v12
	v_cvt_f32_f64_e32 v8, v[8:9]
	v_cvt_f32_f64_e32 v9, v[14:15]
	v_mul_f64 v[0:1], v[0:1], s[0:1]
	v_mov_b32_e32 v14, s3
	v_cvt_f32_f64_e32 v4, v[4:5]
	s_waitcnt vmcnt(8)
	v_mul_f32_e32 v5, v3, v31
	v_addc_co_u32_e32 v13, vcc, v13, v14, vcc
	v_fmac_f32_e32 v5, v2, v30
	global_store_dwordx2 v[12:13], v[8:9], off
	v_cvt_f64_f32_e32 v[8:9], v5
	v_mul_f32_e32 v2, v2, v31
	v_fma_f32 v2, v30, v3, -v2
	v_cvt_f64_f32_e32 v[2:3], v2
	v_mul_f64 v[8:9], v[8:9], s[0:1]
	v_cvt_f32_f64_e32 v5, v[0:1]
	v_mov_b32_e32 v0, s3
	v_add_co_u32_e32 v12, vcc, s2, v12
	v_addc_co_u32_e32 v13, vcc, v13, v0, vcc
	v_add_u32_e32 v0, 0x1000, v55
	v_mul_f64 v[14:15], v[2:3], s[0:1]
	ds_read2_b64 v[0:3], v0 offset0:55 offset1:118
	global_store_dwordx2 v[12:13], v[4:5], off
	v_cvt_f32_f64_e32 v4, v[8:9]
	s_waitcnt vmcnt(6) lgkmcnt(0)
	v_mul_f32_e32 v8, v1, v11
	v_fmac_f32_e32 v8, v0, v10
	v_mul_f32_e32 v0, v0, v11
	v_fma_f32 v0, v10, v1, -v0
	v_cvt_f32_f64_e32 v5, v[14:15]
	v_cvt_f64_f32_e32 v[8:9], v8
	v_cvt_f64_f32_e32 v[0:1], v0
	v_mov_b32_e32 v14, s3
	v_add_co_u32_e32 v10, vcc, s2, v12
	v_addc_co_u32_e32 v11, vcc, v13, v14, vcc
	global_store_dwordx2 v[10:11], v[4:5], off
	v_mul_f64 v[4:5], v[8:9], s[0:1]
	v_mul_f64 v[0:1], v[0:1], s[0:1]
	s_waitcnt vmcnt(6)
	v_mul_f32_e32 v8, v3, v7
	v_fmac_f32_e32 v8, v2, v6
	v_mul_f32_e32 v2, v2, v7
	v_fma_f32 v2, v6, v3, -v2
	v_cvt_f64_f32_e32 v[8:9], v8
	v_cvt_f64_f32_e32 v[2:3], v2
	v_cvt_f32_f64_e32 v4, v[4:5]
	v_cvt_f32_f64_e32 v5, v[0:1]
	v_mul_f64 v[0:1], v[8:9], s[0:1]
	v_mul_f64 v[2:3], v[2:3], s[0:1]
	v_mov_b32_e32 v7, s3
	v_add_co_u32_e32 v6, vcc, s2, v10
	v_addc_co_u32_e32 v7, vcc, v11, v7, vcc
	global_store_dwordx2 v[6:7], v[4:5], off
	v_cvt_f32_f64_e32 v0, v[0:1]
	v_cvt_f32_f64_e32 v1, v[2:3]
	v_mov_b32_e32 v3, s3
	v_add_co_u32_e32 v2, vcc, s2, v6
	v_addc_co_u32_e32 v3, vcc, v7, v3, vcc
	global_store_dwordx2 v[2:3], v[0:1], off
.LBB0_23:
	s_endpgm
	.section	.rodata,"a",@progbits
	.p2align	6, 0x0
	.amdhsa_kernel bluestein_single_fwd_len693_dim1_sp_op_CI_CI
		.amdhsa_group_segment_fixed_size 5544
		.amdhsa_private_segment_fixed_size 0
		.amdhsa_kernarg_size 104
		.amdhsa_user_sgpr_count 6
		.amdhsa_user_sgpr_private_segment_buffer 1
		.amdhsa_user_sgpr_dispatch_ptr 0
		.amdhsa_user_sgpr_queue_ptr 0
		.amdhsa_user_sgpr_kernarg_segment_ptr 1
		.amdhsa_user_sgpr_dispatch_id 0
		.amdhsa_user_sgpr_flat_scratch_init 0
		.amdhsa_user_sgpr_private_segment_size 0
		.amdhsa_uses_dynamic_stack 0
		.amdhsa_system_sgpr_private_segment_wavefront_offset 0
		.amdhsa_system_sgpr_workgroup_id_x 1
		.amdhsa_system_sgpr_workgroup_id_y 0
		.amdhsa_system_sgpr_workgroup_id_z 0
		.amdhsa_system_sgpr_workgroup_info 0
		.amdhsa_system_vgpr_workitem_id 0
		.amdhsa_next_free_vgpr 132
		.amdhsa_next_free_sgpr 19
		.amdhsa_reserve_vcc 1
		.amdhsa_reserve_flat_scratch 0
		.amdhsa_float_round_mode_32 0
		.amdhsa_float_round_mode_16_64 0
		.amdhsa_float_denorm_mode_32 3
		.amdhsa_float_denorm_mode_16_64 3
		.amdhsa_dx10_clamp 1
		.amdhsa_ieee_mode 1
		.amdhsa_fp16_overflow 0
		.amdhsa_exception_fp_ieee_invalid_op 0
		.amdhsa_exception_fp_denorm_src 0
		.amdhsa_exception_fp_ieee_div_zero 0
		.amdhsa_exception_fp_ieee_overflow 0
		.amdhsa_exception_fp_ieee_underflow 0
		.amdhsa_exception_fp_ieee_inexact 0
		.amdhsa_exception_int_div_zero 0
	.end_amdhsa_kernel
	.text
.Lfunc_end0:
	.size	bluestein_single_fwd_len693_dim1_sp_op_CI_CI, .Lfunc_end0-bluestein_single_fwd_len693_dim1_sp_op_CI_CI
                                        ; -- End function
	.section	.AMDGPU.csdata,"",@progbits
; Kernel info:
; codeLenInByte = 10536
; NumSgprs: 23
; NumVgprs: 132
; ScratchSize: 0
; MemoryBound: 0
; FloatMode: 240
; IeeeMode: 1
; LDSByteSize: 5544 bytes/workgroup (compile time only)
; SGPRBlocks: 2
; VGPRBlocks: 32
; NumSGPRsForWavesPerEU: 23
; NumVGPRsForWavesPerEU: 132
; Occupancy: 1
; WaveLimiterHint : 1
; COMPUTE_PGM_RSRC2:SCRATCH_EN: 0
; COMPUTE_PGM_RSRC2:USER_SGPR: 6
; COMPUTE_PGM_RSRC2:TRAP_HANDLER: 0
; COMPUTE_PGM_RSRC2:TGID_X_EN: 1
; COMPUTE_PGM_RSRC2:TGID_Y_EN: 0
; COMPUTE_PGM_RSRC2:TGID_Z_EN: 0
; COMPUTE_PGM_RSRC2:TIDIG_COMP_CNT: 0
	.type	__hip_cuid_de1856f47ff85c88,@object ; @__hip_cuid_de1856f47ff85c88
	.section	.bss,"aw",@nobits
	.globl	__hip_cuid_de1856f47ff85c88
__hip_cuid_de1856f47ff85c88:
	.byte	0                               ; 0x0
	.size	__hip_cuid_de1856f47ff85c88, 1

	.ident	"AMD clang version 19.0.0git (https://github.com/RadeonOpenCompute/llvm-project roc-6.4.0 25133 c7fe45cf4b819c5991fe208aaa96edf142730f1d)"
	.section	".note.GNU-stack","",@progbits
	.addrsig
	.addrsig_sym __hip_cuid_de1856f47ff85c88
	.amdgpu_metadata
---
amdhsa.kernels:
  - .args:
      - .actual_access:  read_only
        .address_space:  global
        .offset:         0
        .size:           8
        .value_kind:     global_buffer
      - .actual_access:  read_only
        .address_space:  global
        .offset:         8
        .size:           8
        .value_kind:     global_buffer
      - .actual_access:  read_only
        .address_space:  global
        .offset:         16
        .size:           8
        .value_kind:     global_buffer
      - .actual_access:  read_only
        .address_space:  global
        .offset:         24
        .size:           8
        .value_kind:     global_buffer
      - .actual_access:  read_only
        .address_space:  global
        .offset:         32
        .size:           8
        .value_kind:     global_buffer
      - .offset:         40
        .size:           8
        .value_kind:     by_value
      - .address_space:  global
        .offset:         48
        .size:           8
        .value_kind:     global_buffer
      - .address_space:  global
        .offset:         56
        .size:           8
        .value_kind:     global_buffer
      - .address_space:  global
        .offset:         64
        .size:           8
        .value_kind:     global_buffer
      - .address_space:  global
        .offset:         72
        .size:           8
        .value_kind:     global_buffer
      - .offset:         80
        .size:           4
        .value_kind:     by_value
      - .address_space:  global
        .offset:         88
        .size:           8
        .value_kind:     global_buffer
      - .address_space:  global
        .offset:         96
        .size:           8
        .value_kind:     global_buffer
    .group_segment_fixed_size: 5544
    .kernarg_segment_align: 8
    .kernarg_segment_size: 104
    .language:       OpenCL C
    .language_version:
      - 2
      - 0
    .max_flat_workgroup_size: 99
    .name:           bluestein_single_fwd_len693_dim1_sp_op_CI_CI
    .private_segment_fixed_size: 0
    .sgpr_count:     23
    .sgpr_spill_count: 0
    .symbol:         bluestein_single_fwd_len693_dim1_sp_op_CI_CI.kd
    .uniform_work_group_size: 1
    .uses_dynamic_stack: false
    .vgpr_count:     132
    .vgpr_spill_count: 0
    .wavefront_size: 64
amdhsa.target:   amdgcn-amd-amdhsa--gfx906
amdhsa.version:
  - 1
  - 2
...

	.end_amdgpu_metadata
